;; amdgpu-corpus repo=ROCm/rocFFT kind=compiled arch=gfx950 opt=O3
	.text
	.amdgcn_target "amdgcn-amd-amdhsa--gfx950"
	.amdhsa_code_object_version 6
	.protected	bluestein_single_back_len1331_dim1_sp_op_CI_CI ; -- Begin function bluestein_single_back_len1331_dim1_sp_op_CI_CI
	.globl	bluestein_single_back_len1331_dim1_sp_op_CI_CI
	.p2align	8
	.type	bluestein_single_back_len1331_dim1_sp_op_CI_CI,@function
bluestein_single_back_len1331_dim1_sp_op_CI_CI: ; @bluestein_single_back_len1331_dim1_sp_op_CI_CI
; %bb.0:
	s_load_dwordx4 s[16:19], s[0:1], 0x28
	v_mul_u32_u24_e32 v1, 0x21e, v0
	v_lshrrev_b32_e32 v1, 16, v1
	v_lshl_add_u32 v2, s2, 1, v1
	v_mov_b32_e32 v3, 0
	s_waitcnt lgkmcnt(0)
	v_cmp_gt_u64_e32 vcc, s[16:17], v[2:3]
	s_and_saveexec_b64 s[2:3], vcc
	s_cbranch_execz .LBB0_2
; %bb.1:
	s_load_dwordx4 s[12:15], s[0:1], 0x18
	s_load_dwordx4 s[8:11], s[0:1], 0x0
	v_mov_b32_e32 v4, s18
	v_mov_b32_e32 v5, s19
	s_mov_b32 s22, 0x3e903f40
	s_waitcnt lgkmcnt(0)
	s_load_dwordx4 s[4:7], s[14:15], 0x0
	s_mov_b32 s43, s22
	s_load_dwordx4 s[12:15], s[12:13], 0x0
	s_mov_b32 s20, 0x3f7d64f0
	s_mov_b32 s41, s20
	s_waitcnt lgkmcnt(0)
	v_mad_u64_u32 v[50:51], s[2:3], s6, v2, 0
	v_mad_u64_u32 v[6:7], s[2:3], s14, v2, 0
	v_mov_b32_e32 v8, v51
	v_mad_u64_u32 v[64:65], s[2:3], s7, v2, v[8:9]
	v_mov_b32_e32 v8, v7
	v_mad_u64_u32 v[8:9], s[2:3], s15, v2, v[8:9]
	v_mul_lo_u16_e32 v2, 0x79, v1
	v_sub_u16_e32 v75, v0, v2
	v_mov_b32_e32 v7, v8
	v_mad_u64_u32 v[8:9], s[2:3], s12, v75, 0
	v_mov_b32_e32 v0, v9
	v_mad_u64_u32 v[10:11], s[2:3], s13, v75, v[0:1]
	v_mov_b32_e32 v9, v10
	v_lshl_add_u64 v[4:5], v[6:7], 3, v[4:5]
	v_lshl_add_u64 v[4:5], v[8:9], 3, v[4:5]
	v_mov_b32_e32 v65, 0x3c8
	global_load_dwordx2 v[6:7], v[4:5], off
	v_mad_u64_u32 v[4:5], s[2:3], s12, v65, v[4:5]
	s_mul_i32 s6, s13, 0x3c8
	v_add_u32_e32 v5, s6, v5
	v_mad_u64_u32 v[8:9], s[2:3], s12, v65, v[4:5]
	v_add_u32_e32 v9, s6, v9
	v_mad_u64_u32 v[10:11], s[2:3], s12, v65, v[8:9]
	v_add_u32_e32 v11, s6, v11
	v_mad_u64_u32 v[12:13], s[2:3], s12, v65, v[10:11]
	v_lshlrev_b32_e32 v2, 3, v75
	v_add_u32_e32 v13, s6, v13
	global_load_dwordx2 v[68:69], v2, s[8:9]
	global_load_dwordx2 v[66:67], v2, s[8:9] offset:968
	global_load_dwordx2 v[60:61], v2, s[8:9] offset:1936
	;; [unrolled: 1-line block ×3, first 2 shown]
	global_load_dwordx2 v[14:15], v[4:5], off
	global_load_dwordx2 v[16:17], v[8:9], off
	;; [unrolled: 1-line block ×4, first 2 shown]
	global_load_dwordx2 v[52:53], v2, s[8:9] offset:3872
	v_mad_u64_u32 v[4:5], s[2:3], s12, v65, v[12:13]
	v_lshl_add_u64 v[70:71], s[8:9], 0, v[2:3]
	v_add_u32_e32 v5, s6, v5
	s_movk_i32 s2, 0x1000
	global_load_dwordx2 v[8:9], v[4:5], off
	v_add_co_u32_e32 v10, vcc, s2, v70
	v_mad_u64_u32 v[4:5], s[2:3], s12, v65, v[4:5]
	v_add_u32_e32 v5, s6, v5
	v_addc_co_u32_e32 v11, vcc, 0, v71, vcc
	global_load_dwordx2 v[12:13], v[4:5], off
	global_load_dwordx2 v[58:59], v[10:11], off offset:744
	v_mad_u64_u32 v[4:5], s[2:3], s12, v65, v[4:5]
	v_add_u32_e32 v5, s6, v5
	global_load_dwordx2 v[22:23], v[4:5], off
	v_mad_u64_u32 v[4:5], s[2:3], s12, v65, v[4:5]
	v_add_u32_e32 v5, s6, v5
	global_load_dwordx2 v[62:63], v[10:11], off offset:1712
	global_load_dwordx2 v[24:25], v[4:5], off
	global_load_dwordx2 v[56:57], v[10:11], off offset:2680
	global_load_dwordx2 v[46:47], v[10:11], off offset:3648
	v_mad_u64_u32 v[4:5], s[2:3], s12, v65, v[4:5]
	s_movk_i32 s2, 0x2000
	s_nop 0
	v_add_co_u32_e32 v80, vcc, s2, v70
	v_add_u32_e32 v5, s6, v5
	s_nop 0
	v_addc_co_u32_e32 v81, vcc, 0, v71, vcc
	global_load_dwordx2 v[10:11], v[4:5], off
	global_load_dwordx2 v[48:49], v[80:81], off offset:520
	v_mad_u64_u32 v[4:5], s[2:3], s12, v65, v[4:5]
	v_add_u32_e32 v5, s6, v5
	global_load_dwordx2 v[26:27], v[4:5], off
	global_load_dwordx2 v[44:45], v[80:81], off offset:1488
	v_and_b32_e32 v0, 1, v1
	v_mov_b32_e32 v1, 0x2998
	v_cmp_eq_u32_e32 vcc, 1, v0
	s_mov_b32 s2, 0xbf0a6770
	s_mov_b32 s3, 0x3f575c64
	v_cndmask_b32_e32 v34, 0, v1, vcc
	v_add_u32_e32 v73, v34, v2
	v_add_u32_e32 v85, 0x400, v73
	;; [unrolled: 1-line block ×5, first 2 shown]
	s_mov_b32 s26, s3
	s_mov_b32 s27, s2
	;; [unrolled: 1-line block ×27, first 2 shown]
	s_waitcnt vmcnt(20)
	v_mul_f32_e32 v0, v7, v69
	v_mul_f32_e32 v1, v6, v69
	s_waitcnt vmcnt(16)
	v_mul_f32_e32 v2, v15, v67
	v_mul_f32_e32 v3, v14, v67
	v_fmac_f32_e32 v0, v6, v68
	v_fma_f32 v1, v7, v68, -v1
	v_fmac_f32_e32 v2, v14, v66
	v_fma_f32 v3, v15, v66, -v3
	ds_write2_b64 v73, v[0:1], v[2:3] offset1:121
	s_waitcnt vmcnt(15)
	v_mul_f32_e32 v0, v17, v61
	v_mul_f32_e32 v1, v16, v61
	s_waitcnt vmcnt(14)
	v_mul_f32_e32 v2, v19, v55
	v_mul_f32_e32 v3, v18, v55
	v_fmac_f32_e32 v0, v16, v60
	v_fma_f32 v1, v17, v60, -v1
	v_fmac_f32_e32 v2, v18, v54
	v_fma_f32 v3, v19, v54, -v3
	ds_write2_b64 v85, v[0:1], v[2:3] offset0:114 offset1:235
	s_waitcnt vmcnt(12)
	v_mul_f32_e32 v0, v21, v53
	v_mul_f32_e32 v1, v20, v53
	s_waitcnt vmcnt(9)
	v_mul_f32_e32 v2, v9, v59
	v_mul_f32_e32 v3, v8, v59
	v_fmac_f32_e32 v0, v20, v52
	v_fma_f32 v1, v21, v52, -v1
	v_fmac_f32_e32 v2, v8, v58
	v_fma_f32 v3, v9, v58, -v3
	ds_write2_b64 v83, v[0:1], v[2:3] offset0:100 offset1:221
	;; [unrolled: 11-line block ×4, first 2 shown]
	s_waitcnt vmcnt(0)
	v_mul_f32_e32 v0, v27, v45
	v_mul_f32_e32 v1, v26, v45
	v_fmac_f32_e32 v0, v26, v44
	v_fma_f32 v1, v27, v44, -v1
	ds_write_b64 v73, v[0:1] offset:9680
	s_waitcnt lgkmcnt(0)
	s_barrier
	ds_read2_b64 v[0:3], v73 offset1:121
	ds_read2_b64 v[4:7], v85 offset0:114 offset1:235
	ds_read2_b64 v[8:11], v83 offset0:100 offset1:221
	;; [unrolled: 1-line block ×4, first 2 shown]
	ds_read_b64 v[20:21], v73 offset:9680
	s_waitcnt lgkmcnt(5)
	v_pk_add_f32 v[22:23], v[0:1], v[2:3]
	s_waitcnt lgkmcnt(0)
	v_pk_add_f32 v[22:23], v[22:23], v[4:5]
	v_pk_add_f32 v[38:39], v[18:19], v[4:5]
	;; [unrolled: 1-line block ×11, first 2 shown]
	v_pk_add_f32 v[28:29], v[10:11], v[12:13] neg_lo:[0,1] neg_hi:[0,1]
	v_pk_add_f32 v[22:23], v[22:23], v[16:17]
	v_pk_add_f32 v[16:17], v[6:7], v[16:17] neg_lo:[0,1] neg_hi:[0,1]
	v_pk_add_f32 v[22:23], v[22:23], v[18:19]
	v_pk_add_f32 v[18:19], v[4:5], v[18:19] neg_lo:[0,1] neg_hi:[0,1]
	v_pk_add_f32 v[4:5], v[2:3], v[20:21] neg_lo:[0,1] neg_hi:[0,1]
	v_mov_b32_e32 v3, v87
	v_mov_b32_e32 v87, v4
	v_mov_b32_e32 v2, v5
	v_pk_mul_f32 v[4:5], v[86:87], s[26:27]
	v_pk_add_f32 v[36:37], v[22:23], v[20:21]
	v_pk_add_f32 v[22:23], v[8:9], v[14:15] neg_lo:[0,1] neg_hi:[0,1]
	v_mov_b32_e32 v7, v39
	v_mov_b32_e32 v39, v18
	v_pk_fma_f32 v[10:11], v[2:3], s[2:3], v[4:5] neg_lo:[1,0,0] neg_hi:[1,0,0]
	v_pk_fma_f32 v[8:9], v[2:3], s[2:3], v[4:5]
	v_mov_b32_e32 v6, v19
	v_mov_b32_e32 v11, v9
	v_pk_mul_f32 v[12:13], v[38:39], s[34:35]
	v_pk_add_f32 v[14:15], v[0:1], v[10:11]
	v_pk_fma_f32 v[18:19], v[6:7], s[14:15], v[12:13] neg_lo:[1,0,0] neg_hi:[1,0,0]
	v_pk_fma_f32 v[10:11], v[6:7], s[14:15], v[12:13]
	v_mul_lo_u16_e32 v9, 11, v75
	v_mov_b32_e32 v19, v11
	v_pk_add_f32 v[20:21], v[18:19], v[14:15]
	v_mov_b32_e32 v15, v41
	v_mov_b32_e32 v41, v16
	;; [unrolled: 1-line block ×3, first 2 shown]
	v_pk_mul_f32 v[18:19], v[40:41], s[24:25]
	v_lshl_add_u32 v51, v9, 3, v34
	v_pk_fma_f32 v[24:25], v[14:15], s[6:7], v[18:19] neg_lo:[1,0,0] neg_hi:[1,0,0]
	v_pk_fma_f32 v[16:17], v[14:15], s[6:7], v[18:19]
	s_barrier
	v_mov_b32_e32 v25, v17
	v_pk_add_f32 v[26:27], v[24:25], v[20:21]
	v_mov_b32_e32 v21, v43
	v_mov_b32_e32 v43, v22
	;; [unrolled: 1-line block ×3, first 2 shown]
	v_pk_mul_f32 v[24:25], v[42:43], s[28:29]
	s_nop 0
	v_pk_fma_f32 v[30:31], v[20:21], s[8:9], v[24:25] neg_lo:[1,0,0] neg_hi:[1,0,0]
	v_pk_fma_f32 v[22:23], v[20:21], s[8:9], v[24:25]
	v_pk_mul_f32 v[92:93], v[38:39], s[28:29]
	v_mov_b32_e32 v31, v23
	v_pk_add_f32 v[88:89], v[30:31], v[26:27]
	v_mov_b32_e32 v27, v33
	v_mov_b32_e32 v33, v28
	;; [unrolled: 1-line block ×3, first 2 shown]
	v_pk_mul_f32 v[30:31], v[32:33], s[30:31]
	v_pk_fma_f32 v[94:95], v[6:7], s[8:9], v[92:93] neg_lo:[1,0,0] neg_hi:[1,0,0]
	v_pk_fma_f32 v[90:91], v[26:27], s[12:13], v[30:31] neg_lo:[1,0,0] neg_hi:[1,0,0]
	v_pk_fma_f32 v[28:29], v[26:27], s[12:13], v[30:31]
	v_pk_fma_f32 v[96:97], v[6:7], s[8:9], v[92:93]
	v_mov_b32_e32 v91, v29
	v_pk_add_f32 v[88:89], v[90:91], v[88:89]
	ds_write2_b64 v51, v[36:37], v[88:89] offset1:1
	v_pk_mul_f32 v[36:37], v[86:87], s[34:35]
	v_mov_b32_e32 v95, v97
	v_pk_fma_f32 v[88:89], v[2:3], s[14:15], v[36:37] neg_lo:[1,0,0] neg_hi:[1,0,0]
	v_pk_fma_f32 v[90:91], v[2:3], s[14:15], v[36:37]
	v_pk_mul_f32 v[114:115], v[38:39], s[42:43]
	v_mov_b32_e32 v89, v91
	v_pk_add_f32 v[88:89], v[0:1], v[88:89]
	v_pk_fma_f32 v[116:117], v[6:7], s[22:23], v[114:115] neg_lo:[1,0,0] neg_hi:[1,0,0]
	v_pk_add_f32 v[88:89], v[94:95], v[88:89]
	v_pk_mul_f32 v[94:95], v[40:41], s[42:43]
	v_pk_fma_f32 v[118:119], v[6:7], s[22:23], v[114:115]
	v_pk_fma_f32 v[98:99], v[14:15], s[22:23], v[94:95] neg_lo:[1,0,0] neg_hi:[1,0,0]
	v_pk_fma_f32 v[100:101], v[14:15], s[22:23], v[94:95]
	v_mov_b32_e32 v117, v119
	v_mov_b32_e32 v99, v101
	v_pk_add_f32 v[88:89], v[98:99], v[88:89]
	v_pk_mul_f32 v[98:99], v[42:43], s[40:41]
	s_mov_b32 s38, s15
	v_pk_fma_f32 v[102:103], v[20:21], s[20:21], v[98:99] neg_lo:[1,0,0] neg_hi:[1,0,0]
	v_pk_fma_f32 v[104:105], v[20:21], s[20:21], v[98:99]
	s_mov_b32 s39, s18
	v_mov_b32_e32 v103, v105
	v_pk_add_f32 v[88:89], v[102:103], v[88:89]
	v_pk_mul_f32 v[102:103], v[32:33], s[36:37]
	s_mov_b32 s19, s15
	v_pk_fma_f32 v[106:107], v[26:27], s[16:17], v[102:103] neg_lo:[1,0,0] neg_hi:[1,0,0]
	v_pk_fma_f32 v[108:109], v[26:27], s[16:17], v[102:103]
	v_pk_mul_f32 v[132:133], v[38:39], s[40:41]
	v_mov_b32_e32 v107, v109
	v_pk_add_f32 v[88:89], v[106:107], v[88:89]
	v_pk_mul_f32 v[106:107], v[86:87], s[24:25]
	v_pk_fma_f32 v[134:135], v[6:7], s[20:21], v[132:133] neg_lo:[1,0,0] neg_hi:[1,0,0]
	v_pk_fma_f32 v[110:111], v[2:3], s[6:7], v[106:107] neg_lo:[1,0,0] neg_hi:[1,0,0]
	v_pk_fma_f32 v[112:113], v[2:3], s[6:7], v[106:107]
	v_pk_fma_f32 v[136:137], v[6:7], s[20:21], v[132:133]
	v_mov_b32_e32 v111, v113
	v_pk_add_f32 v[110:111], v[0:1], v[110:111]
	v_mov_b32_e32 v135, v137
	v_pk_add_f32 v[110:111], v[116:117], v[110:111]
	v_pk_mul_f32 v[116:117], v[40:41], s[38:39]
	v_pk_mul_f32 v[38:39], v[38:39], s[36:37]
	v_pk_fma_f32 v[120:121], v[14:15], s[18:19], v[116:117] neg_lo:[1,0,0] neg_hi:[1,0,0]
	v_pk_fma_f32 v[122:123], v[14:15], s[18:19], v[116:117]
	v_pk_fma_f32 v[152:153], v[6:7], s[16:17], v[38:39] neg_lo:[1,0,0] neg_hi:[1,0,0]
	v_mov_b32_e32 v121, v123
	v_pk_add_f32 v[110:111], v[120:121], v[110:111]
	v_pk_mul_f32 v[120:121], v[42:43], s[26:27]
	v_pk_fma_f32 v[154:155], v[6:7], s[16:17], v[38:39]
	v_pk_fma_f32 v[124:125], v[20:21], s[2:3], v[120:121] neg_lo:[1,0,0] neg_hi:[1,0,0]
	v_pk_fma_f32 v[126:127], v[20:21], s[2:3], v[120:121]
	v_mov_b32_e32 v153, v155
	v_mov_b32_e32 v125, v127
	v_pk_add_f32 v[110:111], v[124:125], v[110:111]
	v_pk_mul_f32 v[124:125], v[32:33], s[28:29]
	v_pk_fma_f32 v[38:39], v[6:7], s[16:17], v[38:39] neg_lo:[0,0,1] neg_hi:[0,0,1]
	v_pk_fma_f32 v[128:129], v[26:27], s[8:9], v[124:125] neg_lo:[1,0,0] neg_hi:[1,0,0]
	v_pk_fma_f32 v[130:131], v[26:27], s[8:9], v[124:125]
	v_mov_b32_e32 v155, v39
	v_mov_b32_e32 v129, v131
	v_pk_add_f32 v[110:111], v[128:129], v[110:111]
	ds_write2_b64 v51, v[88:89], v[110:111] offset0:2 offset1:3
	v_pk_mul_f32 v[88:89], v[86:87], s[28:29]
	v_pk_mul_f32 v[86:87], v[86:87], s[30:31]
	v_pk_fma_f32 v[110:111], v[2:3], s[8:9], v[88:89] neg_lo:[1,0,0] neg_hi:[1,0,0]
	v_pk_fma_f32 v[128:129], v[2:3], s[8:9], v[88:89]
	v_pk_fma_f32 v[150:151], v[2:3], s[12:13], v[86:87]
	v_mov_b32_e32 v111, v129
	v_pk_add_f32 v[110:111], v[0:1], v[110:111]
	v_pk_fma_f32 v[36:37], v[2:3], s[14:15], v[36:37] neg_lo:[0,0,1] neg_hi:[0,0,1]
	v_pk_add_f32 v[110:111], v[134:135], v[110:111]
	v_pk_mul_f32 v[134:135], v[40:41], s[26:27]
	v_pk_mul_f32 v[40:41], v[40:41], s[28:29]
	v_pk_fma_f32 v[138:139], v[14:15], s[2:3], v[134:135] neg_lo:[1,0,0] neg_hi:[1,0,0]
	v_pk_fma_f32 v[140:141], v[14:15], s[2:3], v[134:135]
	v_pk_fma_f32 v[156:157], v[14:15], s[8:9], v[40:41]
	v_mov_b32_e32 v139, v141
	v_pk_add_f32 v[110:111], v[138:139], v[110:111]
	v_pk_mul_f32 v[138:139], v[42:43], s[30:31]
	v_pk_mul_f32 v[42:43], v[42:43], s[38:39]
	v_pk_fma_f32 v[142:143], v[20:21], s[12:13], v[138:139] neg_lo:[1,0,0] neg_hi:[1,0,0]
	v_pk_fma_f32 v[144:145], v[20:21], s[12:13], v[138:139]
	v_pk_fma_f32 v[158:159], v[20:21], s[18:19], v[42:43]
	v_mov_b32_e32 v143, v145
	;; [unrolled: 7-line block ×3, first 2 shown]
	v_pk_add_f32 v[110:111], v[146:147], v[110:111]
	v_pk_fma_f32 v[146:147], v[2:3], s[12:13], v[86:87] neg_lo:[1,0,0] neg_hi:[1,0,0]
	v_pk_fma_f32 v[86:87], v[2:3], s[12:13], v[86:87] neg_lo:[0,0,1] neg_hi:[0,0,1]
	v_mov_b32_e32 v147, v151
	v_pk_add_f32 v[146:147], v[0:1], v[146:147]
	v_mov_b32_e32 v151, v87
	v_pk_add_f32 v[146:147], v[152:153], v[146:147]
	v_pk_fma_f32 v[152:153], v[14:15], s[8:9], v[40:41] neg_lo:[1,0,0] neg_hi:[1,0,0]
	v_pk_add_f32 v[38:39], v[0:1], v[150:151]
	v_mov_b32_e32 v153, v157
	v_pk_add_f32 v[146:147], v[152:153], v[146:147]
	v_pk_fma_f32 v[152:153], v[20:21], s[18:19], v[42:43] neg_lo:[1,0,0] neg_hi:[1,0,0]
	v_pk_fma_f32 v[40:41], v[14:15], s[8:9], v[40:41] neg_lo:[0,0,1] neg_hi:[0,0,1]
	v_mov_b32_e32 v153, v159
	v_pk_add_f32 v[38:39], v[154:155], v[38:39]
	v_mov_b32_e32 v157, v41
	v_pk_fma_f32 v[40:41], v[20:21], s[18:19], v[42:43] neg_lo:[0,0,1] neg_hi:[0,0,1]
	v_pk_add_f32 v[146:147], v[152:153], v[146:147]
	v_pk_fma_f32 v[152:153], v[26:27], s[6:7], v[32:33] neg_lo:[1,0,0] neg_hi:[1,0,0]
	v_pk_add_f32 v[38:39], v[156:157], v[38:39]
	v_mov_b32_e32 v159, v41
	v_pk_fma_f32 v[32:33], v[26:27], s[6:7], v[32:33] neg_lo:[0,0,1] neg_hi:[0,0,1]
	v_mov_b32_e32 v153, v161
	v_pk_add_f32 v[38:39], v[158:159], v[38:39]
	v_mov_b32_e32 v161, v33
	v_pk_add_f32 v[32:33], v[160:161], v[38:39]
	v_pk_fma_f32 v[38:39], v[2:3], s[8:9], v[88:89] neg_lo:[0,0,1] neg_hi:[0,0,1]
	v_pk_fma_f32 v[40:41], v[14:15], s[2:3], v[134:135] neg_lo:[0,0,1] neg_hi:[0,0,1]
	v_mov_b32_e32 v129, v39
	v_pk_fma_f32 v[38:39], v[6:7], s[20:21], v[132:133] neg_lo:[0,0,1] neg_hi:[0,0,1]
	v_mov_b32_e32 v141, v41
	v_mov_b32_e32 v137, v39
	v_pk_add_f32 v[38:39], v[0:1], v[128:129]
	v_pk_fma_f32 v[40:41], v[20:21], s[12:13], v[138:139] neg_lo:[0,0,1] neg_hi:[0,0,1]
	v_pk_add_f32 v[38:39], v[136:137], v[38:39]
	v_mov_b32_e32 v145, v41
	v_pk_add_f32 v[38:39], v[140:141], v[38:39]
	v_pk_fma_f32 v[40:41], v[26:27], s[18:19], v[142:143] neg_lo:[0,0,1] neg_hi:[0,0,1]
	v_pk_add_f32 v[38:39], v[144:145], v[38:39]
	v_mov_b32_e32 v149, v41
	v_pk_add_f32 v[38:39], v[148:149], v[38:39]
	ds_write2_b64 v51, v[32:33], v[38:39] offset0:6 offset1:7
	v_pk_fma_f32 v[32:33], v[2:3], s[6:7], v[106:107] neg_lo:[0,0,1] neg_hi:[0,0,1]
	v_pk_fma_f32 v[2:3], v[2:3], s[2:3], v[4:5] neg_lo:[0,0,1] neg_hi:[0,0,1]
	v_mov_b32_e32 v113, v33
	v_pk_fma_f32 v[32:33], v[6:7], s[22:23], v[114:115] neg_lo:[0,0,1] neg_hi:[0,0,1]
	v_mov_b32_e32 v91, v37
	;; [unrolled: 2-line block ×4, first 2 shown]
	v_pk_add_f32 v[32:33], v[0:1], v[112:113]
	v_mov_b32_e32 v97, v37
	v_pk_add_f32 v[36:37], v[0:1], v[90:91]
	v_pk_add_f32 v[0:1], v[0:1], v[8:9]
	v_mov_b32_e32 v11, v3
	v_pk_fma_f32 v[2:3], v[14:15], s[6:7], v[18:19] neg_lo:[0,0,1] neg_hi:[0,0,1]
	v_pk_add_f32 v[0:1], v[10:11], v[0:1]
	v_mov_b32_e32 v17, v3
	v_pk_fma_f32 v[2:3], v[20:21], s[8:9], v[24:25] neg_lo:[0,0,1] neg_hi:[0,0,1]
	;; [unrolled: 3-line block ×3, first 2 shown]
	v_pk_add_f32 v[0:1], v[22:23], v[0:1]
	v_mov_b32_e32 v29, v3
	v_pk_add_f32 v[0:1], v[28:29], v[0:1]
	s_movk_i32 s33, 0x75
	ds_write_b64 v51, v[0:1] offset:80
	v_mul_lo_u16_sdwa v0, v75, s33 dst_sel:DWORD dst_unused:UNUSED_PAD src0_sel:BYTE_0 src1_sel:DWORD
	v_sub_u16_sdwa v1, v75, v0 dst_sel:DWORD dst_unused:UNUSED_PAD src0_sel:DWORD src1_sel:BYTE_1
	v_pk_fma_f32 v[38:39], v[14:15], s[18:19], v[116:117] neg_lo:[0,0,1] neg_hi:[0,0,1]
	v_lshrrev_b16_e32 v1, 1, v1
	v_mov_b32_e32 v123, v39
	v_pk_fma_f32 v[38:39], v[20:21], s[2:3], v[120:121] neg_lo:[0,0,1] neg_hi:[0,0,1]
	v_and_b32_e32 v1, 0x7f, v1
	v_mov_b32_e32 v127, v39
	v_pk_fma_f32 v[38:39], v[26:27], s[8:9], v[124:125] neg_lo:[0,0,1] neg_hi:[0,0,1]
	v_add_u16_sdwa v0, v1, v0 dst_sel:DWORD dst_unused:UNUSED_PAD src0_sel:DWORD src1_sel:BYTE_1
	v_mov_b32_e32 v131, v39
	v_pk_fma_f32 v[38:39], v[14:15], s[22:23], v[94:95] neg_lo:[0,0,1] neg_hi:[0,0,1]
	v_lshrrev_b16_e32 v35, 3, v0
	v_pk_add_f32 v[32:33], v[118:119], v[32:33]
	v_pk_add_f32 v[36:37], v[96:97], v[36:37]
	v_mov_b32_e32 v101, v39
	v_pk_fma_f32 v[38:39], v[20:21], s[20:21], v[98:99] neg_lo:[0,0,1] neg_hi:[0,0,1]
	v_mul_lo_u16_e32 v0, 11, v35
	v_pk_add_f32 v[32:33], v[122:123], v[32:33]
	v_pk_add_f32 v[36:37], v[100:101], v[36:37]
	v_mov_b32_e32 v105, v39
	v_pk_fma_f32 v[38:39], v[26:27], s[16:17], v[102:103] neg_lo:[0,0,1] neg_hi:[0,0,1]
	v_sub_u16_e32 v84, v75, v0
	v_mov_b32_e32 v0, 10
	v_pk_add_f32 v[32:33], v[126:127], v[32:33]
	v_pk_add_f32 v[36:37], v[104:105], v[36:37]
	v_mov_b32_e32 v109, v39
	v_mul_u32_u24_sdwa v0, v84, v0 dst_sel:DWORD dst_unused:UNUSED_PAD src0_sel:BYTE_0 src1_sel:DWORD
	v_pk_add_f32 v[146:147], v[152:153], v[146:147]
	v_pk_add_f32 v[32:33], v[130:131], v[32:33]
	;; [unrolled: 1-line block ×3, first 2 shown]
	v_lshlrev_b32_e32 v20, 3, v0
	ds_write2_b64 v51, v[110:111], v[146:147] offset0:4 offset1:5
	ds_write2_b64 v51, v[32:33], v[36:37] offset0:8 offset1:9
	s_waitcnt lgkmcnt(0)
	s_barrier
	global_load_dwordx4 v[0:3], v20, s[10:11]
	global_load_dwordx4 v[4:7], v20, s[10:11] offset:16
	global_load_dwordx4 v[8:11], v20, s[10:11] offset:32
	;; [unrolled: 1-line block ×4, first 2 shown]
	ds_read2_b64 v[20:23], v85 offset0:114 offset1:235
	ds_read2_b64 v[24:27], v83 offset0:100 offset1:221
	s_movk_i32 s33, 0x50
	s_load_dwordx2 s[0:1], s[0:1], 0x38
	s_waitcnt vmcnt(4)
	v_mov_b32_e32 v72, v3
	s_waitcnt lgkmcnt(0)
	v_pk_mul_f32 v[28:29], v[20:21], v[72:73] op_sel_hi:[1,0]
	s_waitcnt vmcnt(3)
	v_mov_b32_e32 v74, v7
	v_pk_fma_f32 v[30:31], v[20:21], v[2:3], v[28:29] op_sel:[0,0,1] op_sel_hi:[1,1,0] neg_lo:[0,0,1] neg_hi:[0,0,1]
	v_pk_fma_f32 v[28:29], v[20:21], v[2:3], v[28:29] op_sel:[0,0,1] op_sel_hi:[1,0,0]
	v_pk_mul_f32 v[20:21], v[22:23], v[4:5] op_sel:[0,1]
	s_waitcnt vmcnt(2)
	v_mov_b32_e32 v76, v11
	v_pk_fma_f32 v[32:33], v[22:23], v[4:5], v[20:21] op_sel:[0,0,1] op_sel_hi:[1,1,0] neg_lo:[0,0,1] neg_hi:[0,0,1]
	v_pk_fma_f32 v[36:37], v[22:23], v[4:5], v[20:21] op_sel:[0,0,1] op_sel_hi:[1,0,0]
	v_pk_mul_f32 v[20:21], v[24:25], v[74:75] op_sel_hi:[1,0]
	v_mov_b32_e32 v31, v29
	v_pk_fma_f32 v[38:39], v[24:25], v[6:7], v[20:21] op_sel:[0,0,1] op_sel_hi:[1,1,0] neg_lo:[0,0,1] neg_hi:[0,0,1]
	v_pk_fma_f32 v[40:41], v[24:25], v[6:7], v[20:21] op_sel:[0,0,1] op_sel_hi:[1,0,0]
	ds_read2_b64 v[20:23], v79 offset0:86 offset1:207
	v_pk_mul_f32 v[24:25], v[26:27], v[8:9] op_sel:[0,1]
	ds_read_b64 v[28:29], v73 offset:9680
	v_pk_fma_f32 v[42:43], v[26:27], v[8:9], v[24:25] op_sel:[0,0,1] op_sel_hi:[1,1,0] neg_lo:[0,0,1] neg_hi:[0,0,1]
	v_pk_fma_f32 v[86:87], v[26:27], v[8:9], v[24:25] op_sel:[0,0,1] op_sel_hi:[1,0,0]
	s_waitcnt lgkmcnt(1)
	v_pk_mul_f32 v[24:25], v[20:21], v[76:77] op_sel_hi:[1,0]
	s_waitcnt vmcnt(1)
	v_pk_mul_f32 v[90:91], v[22:23], v[12:13] op_sel:[0,1]
	v_pk_fma_f32 v[88:89], v[20:21], v[10:11], v[24:25] op_sel:[0,0,1] op_sel_hi:[1,1,0] neg_lo:[0,0,1] neg_hi:[0,0,1]
	v_pk_fma_f32 v[20:21], v[20:21], v[10:11], v[24:25] op_sel:[0,0,1] op_sel_hi:[1,0,0]
	ds_read2_b64 v[24:27], v77 offset0:72 offset1:193
	v_pk_fma_f32 v[92:93], v[22:23], v[12:13], v[90:91] op_sel:[0,0,1] op_sel_hi:[1,1,0] neg_lo:[0,0,1] neg_hi:[0,0,1]
	v_pk_fma_f32 v[22:23], v[22:23], v[12:13], v[90:91] op_sel:[0,0,1] op_sel_hi:[1,0,0]
	v_mov_b32_e32 v89, v21
	v_mov_b32_e32 v93, v23
	ds_read2_b64 v[20:23], v73 offset1:121
	v_mov_b32_e32 v78, v15
	s_waitcnt lgkmcnt(1)
	v_pk_mul_f32 v[90:91], v[24:25], v[78:79] op_sel_hi:[1,0]
	s_waitcnt vmcnt(0)
	v_mov_b32_e32 v82, v19
	v_pk_fma_f32 v[94:95], v[24:25], v[14:15], v[90:91] op_sel:[0,0,1] op_sel_hi:[1,1,0] neg_lo:[0,0,1] neg_hi:[0,0,1]
	v_pk_fma_f32 v[24:25], v[24:25], v[14:15], v[90:91] op_sel:[0,0,1] op_sel_hi:[1,0,0]
	v_pk_mul_f32 v[90:91], v[26:27], v[16:17] op_sel:[0,1]
	v_mov_b32_e32 v95, v25
	v_pk_fma_f32 v[96:97], v[26:27], v[16:17], v[90:91] op_sel:[0,0,1] op_sel_hi:[1,1,0] neg_lo:[0,0,1] neg_hi:[0,0,1]
	v_pk_fma_f32 v[26:27], v[26:27], v[16:17], v[90:91] op_sel:[0,0,1] op_sel_hi:[1,0,0]
	v_pk_mul_f32 v[24:25], v[28:29], v[82:83] op_sel_hi:[1,0]
	v_mov_b32_e32 v33, v37
	v_mov_b32_e32 v97, v27
	v_pk_fma_f32 v[26:27], v[28:29], v[18:19], v[24:25] op_sel:[0,0,1] op_sel_hi:[1,0,0] neg_lo:[0,0,1] neg_hi:[0,0,1]
	v_pk_fma_f32 v[24:25], v[28:29], v[18:19], v[24:25] op_sel:[0,0,1] op_sel_hi:[1,0,0]
	v_mov_b32_e32 v28, v1
	s_waitcnt lgkmcnt(0)
	v_pk_mul_f32 v[36:37], v[22:23], v[0:1] op_sel:[1,0] op_sel_hi:[0,1]
	v_pk_mul_f32 v[28:29], v[22:23], v[28:29] op_sel:[1,0] op_sel_hi:[0,1]
	v_mov_b32_e32 v36, v37
	v_pk_fma_f32 v[28:29], v[22:23], v[0:1], v[28:29] neg_lo:[0,0,1] neg_hi:[0,0,1]
	v_pk_fma_f32 v[36:37], v[22:23], v[0:1], v[36:37] op_sel:[1,0,0] op_sel_hi:[0,1,1]
	v_mov_b32_e32 v39, v41
	v_mov_b32_e32 v40, v28
	;; [unrolled: 1-line block ×3, first 2 shown]
	v_pk_add_f32 v[40:41], v[20:21], v[40:41]
	v_mov_b32_e32 v43, v87
	v_pk_add_f32 v[40:41], v[40:41], v[30:31]
	v_mov_b32_e32 v22, v26
	v_pk_add_f32 v[40:41], v[40:41], v[32:33]
	v_mov_b32_e32 v23, v25
	v_pk_add_f32 v[40:41], v[40:41], v[38:39]
	v_mov_b32_e32 v3, v36
	v_pk_add_f32 v[40:41], v[40:41], v[42:43]
	v_pk_add_f32 v[86:87], v[28:29], v[26:27]
	v_pk_add_f32 v[40:41], v[40:41], v[88:89]
	v_pk_add_f32 v[26:27], v[28:29], v[26:27] neg_lo:[0,1] neg_hi:[0,1]
	v_pk_add_f32 v[40:41], v[40:41], v[92:93]
	v_mov_b32_e32 v87, v26
	v_pk_add_f32 v[40:41], v[40:41], v[94:95]
	v_pk_add_f32 v[90:91], v[32:33], v[94:95]
	;; [unrolled: 1-line block ×3, first 2 shown]
	v_pk_add_f32 v[32:33], v[32:33], v[94:95] neg_lo:[0,1] neg_hi:[0,1]
	v_pk_add_f32 v[40:41], v[40:41], v[22:23]
	v_pk_add_f32 v[22:23], v[2:3], v[24:25]
	;; [unrolled: 1-line block ×3, first 2 shown]
	v_mov_b32_e32 v22, v25
	v_pk_add_f32 v[28:29], v[36:37], v[22:23] neg_lo:[0,1] neg_hi:[0,1]
	v_pk_add_f32 v[36:37], v[30:31], v[96:97]
	v_pk_add_f32 v[30:31], v[30:31], v[96:97] neg_lo:[0,1] neg_hi:[0,1]
	v_mov_b32_e32 v25, v37
	v_mov_b32_e32 v24, v31
	;; [unrolled: 1-line block ×4, first 2 shown]
	v_pk_mul_f32 v[30:31], v[86:87], s[26:27]
	v_pk_add_f32 v[38:39], v[38:39], v[92:93] neg_lo:[0,1] neg_hi:[0,1]
	v_pk_add_f32 v[92:93], v[42:43], v[88:89]
	v_pk_add_f32 v[42:43], v[42:43], v[88:89] neg_lo:[0,1] neg_hi:[0,1]
	v_pk_fma_f32 v[88:89], v[28:29], s[2:3], v[30:31] neg_lo:[1,0,0] neg_hi:[1,0,0]
	v_pk_fma_f32 v[26:27], v[22:23], s[2:3], v[30:31]
	v_pk_mul_f32 v[96:97], v[36:37], s[34:35]
	v_mov_b32_e32 v89, v27
	v_pk_fma_f32 v[98:99], v[24:25], s[14:15], v[96:97] neg_lo:[1,0,0] neg_hi:[1,0,0]
	v_pk_fma_f32 v[100:101], v[24:25], s[14:15], v[96:97]
	v_pk_add_f32 v[88:89], v[20:21], v[88:89]
	v_mov_b32_e32 v99, v101
	v_pk_add_f32 v[88:89], v[98:99], v[88:89]
	v_mov_b32_e32 v99, v91
	v_mov_b32_e32 v91, v32
	;; [unrolled: 1-line block ×3, first 2 shown]
	v_pk_mul_f32 v[32:33], v[90:91], s[24:25]
	v_mul_u32_u24_e32 v3, 0x79, v35
	v_pk_fma_f32 v[102:103], v[98:99], s[6:7], v[32:33] neg_lo:[1,0,0] neg_hi:[1,0,0]
	v_pk_fma_f32 v[104:105], v[98:99], s[6:7], v[32:33]
	v_add_u32_sdwa v3, v3, v84 dst_sel:DWORD dst_unused:UNUSED_PAD src0_sel:DWORD src1_sel:BYTE_0
	v_mov_b32_e32 v103, v105
	v_pk_add_f32 v[88:89], v[102:103], v[88:89]
	v_mov_b32_e32 v103, v95
	v_mov_b32_e32 v95, v38
	;; [unrolled: 1-line block ×3, first 2 shown]
	v_pk_mul_f32 v[38:39], v[94:95], s[28:29]
	v_lshl_add_u32 v3, v3, 3, v34
	v_pk_fma_f32 v[106:107], v[102:103], s[8:9], v[38:39] neg_lo:[1,0,0] neg_hi:[1,0,0]
	v_pk_fma_f32 v[108:109], v[102:103], s[8:9], v[38:39]
	v_pk_mul_f32 v[34:35], v[86:87], s[34:35]
	v_mov_b32_e32 v107, v109
	v_pk_add_f32 v[88:89], v[106:107], v[88:89]
	v_mov_b32_e32 v107, v93
	v_mov_b32_e32 v93, v42
	;; [unrolled: 1-line block ×3, first 2 shown]
	v_pk_mul_f32 v[42:43], v[92:93], s[30:31]
	s_nop 0
	v_pk_fma_f32 v[110:111], v[106:107], s[12:13], v[42:43] neg_lo:[1,0,0] neg_hi:[1,0,0]
	v_pk_fma_f32 v[112:113], v[106:107], s[12:13], v[42:43]
	s_barrier
	v_mov_b32_e32 v111, v113
	v_pk_add_f32 v[88:89], v[110:111], v[88:89]
	ds_write2_b64 v3, v[40:41], v[88:89] offset1:11
	v_pk_fma_f32 v[40:41], v[28:29], s[14:15], v[34:35] neg_lo:[1,0,0] neg_hi:[1,0,0]
	v_pk_fma_f32 v[88:89], v[22:23], s[14:15], v[34:35]
	v_pk_mul_f32 v[110:111], v[36:37], s[28:29]
	v_mov_b32_e32 v41, v89
	v_pk_fma_f32 v[114:115], v[24:25], s[8:9], v[110:111] neg_lo:[1,0,0] neg_hi:[1,0,0]
	v_pk_fma_f32 v[116:117], v[24:25], s[8:9], v[110:111]
	v_pk_add_f32 v[40:41], v[20:21], v[40:41]
	v_mov_b32_e32 v115, v117
	v_pk_add_f32 v[40:41], v[114:115], v[40:41]
	v_pk_mul_f32 v[114:115], v[90:91], s[42:43]
	v_pk_mul_f32 v[134:135], v[36:37], s[42:43]
	v_pk_fma_f32 v[118:119], v[98:99], s[22:23], v[114:115] neg_lo:[1,0,0] neg_hi:[1,0,0]
	v_pk_fma_f32 v[120:121], v[98:99], s[22:23], v[114:115]
	v_pk_fma_f32 v[136:137], v[24:25], s[22:23], v[134:135] neg_lo:[1,0,0] neg_hi:[1,0,0]
	v_mov_b32_e32 v119, v121
	v_pk_add_f32 v[40:41], v[118:119], v[40:41]
	v_pk_mul_f32 v[118:119], v[94:95], s[40:41]
	v_pk_fma_f32 v[138:139], v[24:25], s[22:23], v[134:135]
	v_pk_fma_f32 v[122:123], v[102:103], s[20:21], v[118:119] neg_lo:[1,0,0] neg_hi:[1,0,0]
	v_pk_fma_f32 v[124:125], v[102:103], s[20:21], v[118:119]
	v_mov_b32_e32 v137, v139
	v_mov_b32_e32 v123, v125
	v_pk_add_f32 v[40:41], v[122:123], v[40:41]
	v_pk_mul_f32 v[122:123], v[92:93], s[36:37]
	v_pk_mul_f32 v[152:153], v[36:37], s[40:41]
	v_pk_fma_f32 v[126:127], v[106:107], s[16:17], v[122:123] neg_lo:[1,0,0] neg_hi:[1,0,0]
	v_pk_fma_f32 v[128:129], v[106:107], s[16:17], v[122:123]
	v_pk_fma_f32 v[154:155], v[24:25], s[20:21], v[152:153] neg_lo:[1,0,0] neg_hi:[1,0,0]
	v_mov_b32_e32 v127, v129
	v_pk_add_f32 v[40:41], v[126:127], v[40:41]
	v_pk_mul_f32 v[126:127], v[86:87], s[24:25]
	v_pk_fma_f32 v[156:157], v[24:25], s[20:21], v[152:153]
	v_pk_fma_f32 v[130:131], v[28:29], s[6:7], v[126:127] neg_lo:[1,0,0] neg_hi:[1,0,0]
	v_pk_fma_f32 v[132:133], v[22:23], s[6:7], v[126:127]
	v_mov_b32_e32 v155, v157
	v_mov_b32_e32 v131, v133
	v_pk_add_f32 v[130:131], v[20:21], v[130:131]
	v_pk_mul_f32 v[36:37], v[36:37], s[36:37]
	v_pk_add_f32 v[130:131], v[136:137], v[130:131]
	v_pk_mul_f32 v[136:137], v[90:91], s[38:39]
	v_pk_fma_f32 v[170:171], v[24:25], s[16:17], v[36:37] neg_lo:[1,0,0] neg_hi:[1,0,0]
	v_pk_fma_f32 v[140:141], v[98:99], s[18:19], v[136:137] neg_lo:[1,0,0] neg_hi:[1,0,0]
	v_pk_fma_f32 v[142:143], v[98:99], s[18:19], v[136:137]
	v_pk_fma_f32 v[172:173], v[24:25], s[16:17], v[36:37]
	v_mov_b32_e32 v141, v143
	v_pk_add_f32 v[130:131], v[140:141], v[130:131]
	v_pk_mul_f32 v[140:141], v[94:95], s[26:27]
	v_mov_b32_e32 v171, v173
	v_pk_fma_f32 v[144:145], v[102:103], s[2:3], v[140:141] neg_lo:[1,0,0] neg_hi:[1,0,0]
	v_pk_fma_f32 v[146:147], v[102:103], s[2:3], v[140:141]
	v_pk_fma_f32 v[34:35], v[22:23], s[14:15], v[34:35] neg_lo:[0,0,1] neg_hi:[0,0,1]
	v_mov_b32_e32 v145, v147
	v_pk_add_f32 v[130:131], v[144:145], v[130:131]
	v_pk_mul_f32 v[144:145], v[92:93], s[28:29]
	v_mov_b32_e32 v89, v35
	v_pk_fma_f32 v[148:149], v[106:107], s[8:9], v[144:145] neg_lo:[1,0,0] neg_hi:[1,0,0]
	v_pk_fma_f32 v[150:151], v[106:107], s[8:9], v[144:145]
	v_pk_fma_f32 v[34:35], v[24:25], s[8:9], v[110:111] neg_lo:[0,0,1] neg_hi:[0,0,1]
	v_mov_b32_e32 v149, v151
	v_pk_add_f32 v[130:131], v[148:149], v[130:131]
	ds_write2_b64 v3, v[40:41], v[130:131] offset0:22 offset1:33
	v_pk_mul_f32 v[40:41], v[86:87], s[28:29]
	v_pk_mul_f32 v[86:87], v[86:87], s[30:31]
	v_pk_fma_f32 v[130:131], v[28:29], s[8:9], v[40:41] neg_lo:[1,0,0] neg_hi:[1,0,0]
	v_pk_fma_f32 v[148:149], v[22:23], s[8:9], v[40:41]
	v_pk_fma_f32 v[28:29], v[28:29], s[12:13], v[86:87] neg_lo:[1,0,0] neg_hi:[1,0,0]
	v_mov_b32_e32 v131, v149
	v_pk_add_f32 v[130:131], v[20:21], v[130:131]
	v_mov_b32_e32 v117, v35
	v_pk_add_f32 v[130:131], v[154:155], v[130:131]
	v_pk_mul_f32 v[154:155], v[90:91], s[26:27]
	v_pk_mul_f32 v[90:91], v[90:91], s[28:29]
	v_pk_fma_f32 v[158:159], v[98:99], s[2:3], v[154:155] neg_lo:[1,0,0] neg_hi:[1,0,0]
	v_pk_fma_f32 v[160:161], v[98:99], s[2:3], v[154:155]
	v_pk_fma_f32 v[174:175], v[98:99], s[8:9], v[90:91]
	v_mov_b32_e32 v159, v161
	v_pk_add_f32 v[130:131], v[158:159], v[130:131]
	v_pk_mul_f32 v[158:159], v[94:95], s[30:31]
	v_pk_mul_f32 v[94:95], v[94:95], s[38:39]
	v_pk_fma_f32 v[162:163], v[102:103], s[12:13], v[158:159] neg_lo:[1,0,0] neg_hi:[1,0,0]
	v_pk_fma_f32 v[164:165], v[102:103], s[12:13], v[158:159]
	v_pk_fma_f32 v[176:177], v[102:103], s[18:19], v[94:95]
	;; [unrolled: 7-line block ×3, first 2 shown]
	v_mov_b32_e32 v167, v169
	v_pk_add_f32 v[130:131], v[166:167], v[130:131]
	v_pk_fma_f32 v[166:167], v[22:23], s[12:13], v[86:87]
	v_pk_add_f32 v[34:35], v[20:21], v[88:89]
	v_mov_b32_e32 v29, v167
	v_pk_add_f32 v[28:29], v[20:21], v[28:29]
	v_pk_add_f32 v[34:35], v[116:117], v[34:35]
	;; [unrolled: 1-line block ×3, first 2 shown]
	v_pk_fma_f32 v[170:171], v[98:99], s[8:9], v[90:91] neg_lo:[1,0,0] neg_hi:[1,0,0]
	s_nop 0
	v_mov_b32_e32 v171, v175
	v_pk_add_f32 v[28:29], v[170:171], v[28:29]
	v_pk_fma_f32 v[170:171], v[102:103], s[18:19], v[94:95] neg_lo:[1,0,0] neg_hi:[1,0,0]
	s_nop 0
	v_mov_b32_e32 v171, v177
	v_pk_add_f32 v[28:29], v[170:171], v[28:29]
	;; [unrolled: 4-line block ×3, first 2 shown]
	ds_write2_b64 v3, v[130:131], v[28:29] offset0:44 offset1:55
	v_pk_fma_f32 v[28:29], v[22:23], s[12:13], v[86:87] neg_lo:[0,0,1] neg_hi:[0,0,1]
	s_nop 0
	v_mov_b32_e32 v167, v29
	v_pk_fma_f32 v[28:29], v[24:25], s[16:17], v[36:37] neg_lo:[0,0,1] neg_hi:[0,0,1]
	v_pk_fma_f32 v[36:37], v[98:99], s[8:9], v[90:91] neg_lo:[0,0,1] neg_hi:[0,0,1]
	v_mov_b32_e32 v173, v29
	v_mov_b32_e32 v175, v37
	v_pk_fma_f32 v[36:37], v[102:103], s[18:19], v[94:95] neg_lo:[0,0,1] neg_hi:[0,0,1]
	v_pk_add_f32 v[28:29], v[20:21], v[166:167]
	v_mov_b32_e32 v177, v37
	v_pk_fma_f32 v[36:37], v[106:107], s[6:7], v[92:93] neg_lo:[0,0,1] neg_hi:[0,0,1]
	v_pk_add_f32 v[28:29], v[172:173], v[28:29]
	v_mov_b32_e32 v179, v37
	v_pk_fma_f32 v[36:37], v[22:23], s[8:9], v[40:41] neg_lo:[0,0,1] neg_hi:[0,0,1]
	v_pk_fma_f32 v[40:41], v[98:99], s[2:3], v[154:155] neg_lo:[0,0,1] neg_hi:[0,0,1]
	v_mov_b32_e32 v149, v37
	v_pk_fma_f32 v[36:37], v[24:25], s[20:21], v[152:153] neg_lo:[0,0,1] neg_hi:[0,0,1]
	v_mov_b32_e32 v161, v41
	v_mov_b32_e32 v157, v37
	v_pk_add_f32 v[36:37], v[20:21], v[148:149]
	v_pk_fma_f32 v[40:41], v[102:103], s[12:13], v[158:159] neg_lo:[0,0,1] neg_hi:[0,0,1]
	v_pk_add_f32 v[36:37], v[156:157], v[36:37]
	v_pk_add_f32 v[28:29], v[174:175], v[28:29]
	;; [unrolled: 1-line block ×3, first 2 shown]
	v_mov_b32_e32 v165, v41
	v_pk_fma_f32 v[40:41], v[106:107], s[18:19], v[162:163] neg_lo:[0,0,1] neg_hi:[0,0,1]
	v_pk_add_f32 v[28:29], v[176:177], v[28:29]
	v_pk_add_f32 v[36:37], v[164:165], v[36:37]
	v_mov_b32_e32 v169, v41
	v_pk_add_f32 v[28:29], v[178:179], v[28:29]
	v_pk_add_f32 v[36:37], v[168:169], v[36:37]
	ds_write2_b64 v3, v[28:29], v[36:37] offset0:66 offset1:77
	v_pk_fma_f32 v[28:29], v[22:23], s[6:7], v[126:127] neg_lo:[0,0,1] neg_hi:[0,0,1]
	v_pk_fma_f32 v[22:23], v[22:23], s[2:3], v[30:31] neg_lo:[0,0,1] neg_hi:[0,0,1]
	v_mov_b32_e32 v133, v29
	v_pk_fma_f32 v[28:29], v[24:25], s[22:23], v[134:135] neg_lo:[0,0,1] neg_hi:[0,0,1]
	v_pk_fma_f32 v[36:37], v[98:99], s[18:19], v[136:137] neg_lo:[0,0,1] neg_hi:[0,0,1]
	v_mov_b32_e32 v27, v23
	v_pk_fma_f32 v[22:23], v[24:25], s[14:15], v[96:97] neg_lo:[0,0,1] neg_hi:[0,0,1]
	v_mov_b32_e32 v139, v29
	v_pk_add_f32 v[28:29], v[20:21], v[132:133]
	v_mov_b32_e32 v143, v37
	v_pk_fma_f32 v[36:37], v[102:103], s[2:3], v[140:141] neg_lo:[0,0,1] neg_hi:[0,0,1]
	v_pk_add_f32 v[20:21], v[20:21], v[26:27]
	v_mov_b32_e32 v101, v23
	v_pk_fma_f32 v[22:23], v[98:99], s[6:7], v[32:33] neg_lo:[0,0,1] neg_hi:[0,0,1]
	v_mov_b32_e32 v147, v37
	v_pk_fma_f32 v[36:37], v[106:107], s[8:9], v[144:145] neg_lo:[0,0,1] neg_hi:[0,0,1]
	v_pk_add_f32 v[20:21], v[100:101], v[20:21]
	v_mov_b32_e32 v105, v23
	v_pk_fma_f32 v[22:23], v[102:103], s[8:9], v[38:39] neg_lo:[0,0,1] neg_hi:[0,0,1]
	;; [unrolled: 5-line block ×3, first 2 shown]
	v_pk_add_f32 v[28:29], v[138:139], v[28:29]
	v_mov_b32_e32 v121, v37
	v_pk_fma_f32 v[36:37], v[102:103], s[20:21], v[118:119] neg_lo:[0,0,1] neg_hi:[0,0,1]
	v_pk_add_f32 v[20:21], v[108:109], v[20:21]
	v_mov_b32_e32 v113, v23
	v_pk_add_f32 v[28:29], v[142:143], v[28:29]
	v_pk_add_f32 v[34:35], v[120:121], v[34:35]
	v_mov_b32_e32 v125, v37
	v_pk_fma_f32 v[36:37], v[106:107], s[16:17], v[122:123] neg_lo:[0,0,1] neg_hi:[0,0,1]
	v_pk_add_f32 v[20:21], v[112:113], v[20:21]
	v_pk_add_f32 v[28:29], v[146:147], v[28:29]
	;; [unrolled: 1-line block ×3, first 2 shown]
	v_mov_b32_e32 v129, v37
	ds_write_b64 v3, v[20:21] offset:880
	v_mov_b64_e32 v[20:21], s[10:11]
	v_pk_add_f32 v[28:29], v[150:151], v[28:29]
	v_pk_add_f32 v[34:35], v[128:129], v[34:35]
	v_mad_u64_u32 v[40:41], s[10:11], v75, s33, v[20:21]
	ds_write2_b64 v3, v[28:29], v[34:35] offset0:88 offset1:99
	s_waitcnt lgkmcnt(0)
	s_barrier
	global_load_dwordx4 v[20:23], v[40:41], off offset:880
	global_load_dwordx4 v[24:27], v[40:41], off offset:896
	;; [unrolled: 1-line block ×5, first 2 shown]
	ds_read2_b64 v[40:43], v85 offset0:114 offset1:235
	s_mov_b64 s[10:11], 0x2998
	s_waitcnt vmcnt(4)
	v_mov_b32_e32 v92, v23
	s_waitcnt lgkmcnt(0)
	v_pk_mul_f32 v[86:87], v[40:41], v[92:93] op_sel_hi:[1,0]
	s_waitcnt vmcnt(1)
	v_mov_b32_e32 v84, v39
	v_pk_fma_f32 v[98:99], v[40:41], v[22:23], v[86:87] op_sel:[0,0,1] op_sel_hi:[1,1,0] neg_lo:[0,0,1] neg_hi:[0,0,1]
	v_pk_fma_f32 v[90:91], v[40:41], v[22:23], v[86:87] op_sel:[0,0,1] op_sel_hi:[1,0,0]
	ds_read2_b64 v[86:89], v83 offset0:100 offset1:221
	v_pk_mul_f32 v[40:41], v[42:43], v[24:25] op_sel:[0,1]
	v_mov_b32_e32 v90, v27
	v_pk_fma_f32 v[100:101], v[42:43], v[24:25], v[40:41] op_sel:[0,0,1] op_sel_hi:[1,1,0] neg_lo:[0,0,1] neg_hi:[0,0,1]
	v_pk_fma_f32 v[102:103], v[42:43], v[24:25], v[40:41] op_sel:[0,0,1] op_sel_hi:[1,0,0]
	s_waitcnt lgkmcnt(0)
	v_pk_mul_f32 v[40:41], v[86:87], v[90:91] op_sel_hi:[1,0]
	v_pk_mul_f32 v[94:95], v[88:89], v[28:29] op_sel:[0,1]
	v_pk_fma_f32 v[104:105], v[86:87], v[26:27], v[40:41] op_sel:[0,0,1] op_sel_hi:[1,1,0] neg_lo:[0,0,1] neg_hi:[0,0,1]
	v_pk_fma_f32 v[86:87], v[86:87], v[26:27], v[40:41] op_sel:[0,0,1] op_sel_hi:[1,0,0]
	ds_read2_b64 v[40:43], v79 offset0:86 offset1:207
	v_pk_fma_f32 v[106:107], v[88:89], v[28:29], v[94:95] op_sel:[0,0,1] op_sel_hi:[1,1,0] neg_lo:[0,0,1] neg_hi:[0,0,1]
	v_pk_fma_f32 v[88:89], v[88:89], v[28:29], v[94:95] op_sel:[0,0,1] op_sel_hi:[1,0,0]
	v_mov_b32_e32 v101, v103
	v_mov_b32_e32 v88, v31
	s_waitcnt lgkmcnt(0)
	v_pk_mul_f32 v[94:95], v[40:41], v[88:89] op_sel_hi:[1,0]
	v_pk_mul_f32 v[110:111], v[42:43], v[36:37] op_sel:[0,1]
	v_pk_fma_f32 v[108:109], v[40:41], v[30:31], v[94:95] op_sel:[0,0,1] op_sel_hi:[1,1,0] neg_lo:[0,0,1] neg_hi:[0,0,1]
	v_pk_fma_f32 v[40:41], v[40:41], v[30:31], v[94:95] op_sel:[0,0,1] op_sel_hi:[1,0,0]
	ds_read2_b64 v[94:97], v77 offset0:72 offset1:193
	v_pk_fma_f32 v[112:113], v[42:43], v[36:37], v[110:111] op_sel:[0,0,1] op_sel_hi:[1,1,0] neg_lo:[0,0,1] neg_hi:[0,0,1]
	v_pk_fma_f32 v[42:43], v[42:43], v[36:37], v[110:111] op_sel:[0,0,1] op_sel_hi:[1,0,0]
	ds_read_b64 v[102:103], v73 offset:9680
	v_mov_b32_e32 v109, v41
	v_mov_b32_e32 v113, v43
	ds_read2_b64 v[40:43], v73 offset1:121
	s_waitcnt lgkmcnt(2)
	v_pk_mul_f32 v[110:111], v[94:95], v[84:85] op_sel_hi:[1,0]
	s_waitcnt vmcnt(0)
	v_mov_b32_e32 v86, v35
	v_pk_fma_f32 v[114:115], v[94:95], v[38:39], v[110:111] op_sel:[0,0,1] op_sel_hi:[1,1,0] neg_lo:[0,0,1] neg_hi:[0,0,1]
	v_pk_fma_f32 v[94:95], v[94:95], v[38:39], v[110:111] op_sel:[0,0,1] op_sel_hi:[1,0,0]
	v_pk_mul_f32 v[110:111], v[96:97], v[32:33] op_sel:[0,1]
	v_mov_b32_e32 v115, v95
	v_pk_fma_f32 v[116:117], v[96:97], v[32:33], v[110:111] op_sel:[0,0,1] op_sel_hi:[1,1,0] neg_lo:[0,0,1] neg_hi:[0,0,1]
	v_pk_fma_f32 v[96:97], v[96:97], v[32:33], v[110:111] op_sel:[0,0,1] op_sel_hi:[1,0,0]
	s_waitcnt lgkmcnt(1)
	v_pk_mul_f32 v[94:95], v[102:103], v[86:87] op_sel_hi:[1,0]
	v_mov_b32_e32 v117, v97
	v_pk_fma_f32 v[96:97], v[102:103], v[34:35], v[94:95] op_sel:[0,0,1] op_sel_hi:[1,0,0] neg_lo:[0,0,1] neg_hi:[0,0,1]
	v_pk_fma_f32 v[94:95], v[102:103], v[34:35], v[94:95] op_sel:[0,0,1] op_sel_hi:[1,0,0]
	v_mov_b32_e32 v102, v21
	s_waitcnt lgkmcnt(0)
	v_pk_mul_f32 v[110:111], v[42:43], v[20:21] op_sel:[1,0] op_sel_hi:[0,1]
	v_pk_mul_f32 v[102:103], v[42:43], v[102:103] op_sel:[1,0] op_sel_hi:[0,1]
	v_mov_b32_e32 v110, v111
	v_pk_fma_f32 v[102:103], v[42:43], v[20:21], v[102:103] neg_lo:[0,0,1] neg_hi:[0,0,1]
	v_pk_fma_f32 v[110:111], v[42:43], v[20:21], v[110:111] op_sel:[1,0,0] op_sel_hi:[0,1,1]
	v_mov_b32_e32 v118, v102
	v_mov_b32_e32 v119, v110
	;; [unrolled: 1-line block ×3, first 2 shown]
	v_pk_add_f32 v[118:119], v[40:41], v[118:119]
	v_mov_b32_e32 v105, v87
	v_pk_add_f32 v[118:119], v[118:119], v[98:99]
	v_mov_b32_e32 v107, v89
	;; [unrolled: 2-line block ×5, first 2 shown]
	v_pk_add_f32 v[118:119], v[118:119], v[108:109]
	v_pk_add_f32 v[120:121], v[102:103], v[96:97]
	;; [unrolled: 1-line block ×3, first 2 shown]
	v_pk_add_f32 v[96:97], v[102:103], v[96:97] neg_lo:[0,1] neg_hi:[0,1]
	v_pk_add_f32 v[118:119], v[118:119], v[114:115]
	v_mov_b32_e32 v121, v96
	v_pk_add_f32 v[118:119], v[118:119], v[116:117]
	v_pk_mul_f32 v[96:97], v[120:121], s[26:27]
	v_pk_add_f32 v[118:119], v[118:119], v[42:43]
	v_pk_add_f32 v[42:43], v[22:23], v[94:95]
	s_nop 0
	v_mov_b32_e32 v42, v95
	v_pk_add_f32 v[102:103], v[110:111], v[42:43] neg_lo:[0,1] neg_hi:[0,1]
	v_pk_add_f32 v[110:111], v[98:99], v[116:117]
	v_pk_add_f32 v[98:99], v[98:99], v[116:117] neg_lo:[0,1] neg_hi:[0,1]
	v_mov_b32_e32 v95, v111
	v_mov_b32_e32 v111, v98
	v_mov_b32_e32 v42, v102
	v_pk_add_f32 v[116:117], v[100:101], v[114:115]
	v_pk_add_f32 v[100:101], v[100:101], v[114:115] neg_lo:[0,1] neg_hi:[0,1]
	v_pk_add_f32 v[114:115], v[104:105], v[112:113]
	v_pk_add_f32 v[104:105], v[104:105], v[112:113] neg_lo:[0,1] neg_hi:[0,1]
	v_pk_add_f32 v[112:113], v[106:107], v[108:109]
	v_pk_add_f32 v[106:107], v[106:107], v[108:109] neg_lo:[0,1] neg_hi:[0,1]
	v_mov_b32_e32 v94, v99
	v_pk_fma_f32 v[98:99], v[102:103], s[2:3], v[96:97] neg_lo:[1,0,0] neg_hi:[1,0,0]
	v_pk_fma_f32 v[108:109], v[42:43], s[2:3], v[96:97]
	v_pk_mul_f32 v[122:123], v[110:111], s[34:35]
	v_mov_b32_e32 v99, v109
	v_pk_fma_f32 v[124:125], v[94:95], s[14:15], v[122:123] neg_lo:[1,0,0] neg_hi:[1,0,0]
	v_pk_fma_f32 v[126:127], v[94:95], s[14:15], v[122:123]
	v_pk_add_f32 v[98:99], v[40:41], v[98:99]
	v_mov_b32_e32 v125, v127
	v_pk_add_f32 v[98:99], v[124:125], v[98:99]
	v_mov_b32_e32 v125, v117
	v_mov_b32_e32 v117, v100
	v_mov_b32_e32 v124, v101
	v_pk_mul_f32 v[100:101], v[116:117], s[24:25]
	v_pk_mul_f32 v[140:141], v[110:111], s[28:29]
	v_pk_fma_f32 v[128:129], v[124:125], s[6:7], v[100:101] neg_lo:[1,0,0] neg_hi:[1,0,0]
	v_pk_fma_f32 v[130:131], v[124:125], s[6:7], v[100:101]
	v_pk_fma_f32 v[142:143], v[94:95], s[8:9], v[140:141] neg_lo:[1,0,0] neg_hi:[1,0,0]
	v_mov_b32_e32 v129, v131
	v_pk_add_f32 v[98:99], v[128:129], v[98:99]
	v_mov_b32_e32 v129, v115
	v_mov_b32_e32 v115, v104
	v_mov_b32_e32 v128, v105
	v_pk_mul_f32 v[104:105], v[114:115], s[28:29]
	v_pk_fma_f32 v[144:145], v[94:95], s[8:9], v[140:141]
	v_pk_fma_f32 v[132:133], v[128:129], s[8:9], v[104:105] neg_lo:[1,0,0] neg_hi:[1,0,0]
	v_pk_fma_f32 v[134:135], v[128:129], s[8:9], v[104:105]
	v_mov_b32_e32 v143, v145
	v_mov_b32_e32 v133, v135
	v_pk_add_f32 v[98:99], v[132:133], v[98:99]
	v_mov_b32_e32 v133, v113
	v_mov_b32_e32 v113, v106
	;; [unrolled: 1-line block ×3, first 2 shown]
	v_pk_mul_f32 v[106:107], v[112:113], s[30:31]
	v_pk_mul_f32 v[162:163], v[110:111], s[42:43]
	v_pk_fma_f32 v[136:137], v[132:133], s[12:13], v[106:107] neg_lo:[1,0,0] neg_hi:[1,0,0]
	v_pk_fma_f32 v[138:139], v[132:133], s[12:13], v[106:107]
	v_pk_fma_f32 v[164:165], v[94:95], s[22:23], v[162:163] neg_lo:[1,0,0] neg_hi:[1,0,0]
	v_mov_b32_e32 v137, v139
	v_pk_add_f32 v[98:99], v[136:137], v[98:99]
	ds_write2_b64 v73, v[118:119], v[98:99] offset1:121
	v_pk_mul_f32 v[98:99], v[120:121], s[34:35]
	v_pk_fma_f32 v[166:167], v[94:95], s[22:23], v[162:163]
	v_pk_fma_f32 v[118:119], v[102:103], s[14:15], v[98:99] neg_lo:[1,0,0] neg_hi:[1,0,0]
	v_pk_fma_f32 v[136:137], v[42:43], s[14:15], v[98:99]
	v_mov_b32_e32 v165, v167
	v_mov_b32_e32 v119, v137
	v_pk_add_f32 v[118:119], v[40:41], v[118:119]
	v_pk_mul_f32 v[180:181], v[110:111], s[40:41]
	v_pk_add_f32 v[118:119], v[142:143], v[118:119]
	v_pk_mul_f32 v[142:143], v[116:117], s[42:43]
	v_pk_fma_f32 v[182:183], v[94:95], s[20:21], v[180:181] neg_lo:[1,0,0] neg_hi:[1,0,0]
	v_pk_fma_f32 v[146:147], v[124:125], s[22:23], v[142:143] neg_lo:[1,0,0] neg_hi:[1,0,0]
	v_pk_fma_f32 v[148:149], v[124:125], s[22:23], v[142:143]
	v_pk_fma_f32 v[184:185], v[94:95], s[20:21], v[180:181]
	v_mov_b32_e32 v147, v149
	v_pk_add_f32 v[118:119], v[146:147], v[118:119]
	v_pk_mul_f32 v[146:147], v[114:115], s[40:41]
	v_mov_b32_e32 v183, v185
	v_pk_fma_f32 v[150:151], v[128:129], s[20:21], v[146:147] neg_lo:[1,0,0] neg_hi:[1,0,0]
	v_pk_fma_f32 v[152:153], v[128:129], s[20:21], v[146:147]
	v_pk_mul_f32 v[110:111], v[110:111], s[36:37]
	v_mov_b32_e32 v151, v153
	v_pk_add_f32 v[118:119], v[150:151], v[118:119]
	v_pk_mul_f32 v[150:151], v[112:113], s[36:37]
	v_pk_fma_f32 v[198:199], v[94:95], s[16:17], v[110:111] neg_lo:[1,0,0] neg_hi:[1,0,0]
	v_pk_fma_f32 v[154:155], v[132:133], s[16:17], v[150:151] neg_lo:[1,0,0] neg_hi:[1,0,0]
	v_pk_fma_f32 v[156:157], v[132:133], s[16:17], v[150:151]
	v_pk_fma_f32 v[200:201], v[94:95], s[16:17], v[110:111]
	v_mov_b32_e32 v155, v157
	v_pk_add_f32 v[118:119], v[154:155], v[118:119]
	v_pk_mul_f32 v[154:155], v[120:121], s[24:25]
	v_mov_b32_e32 v199, v201
	v_pk_fma_f32 v[158:159], v[102:103], s[6:7], v[154:155] neg_lo:[1,0,0] neg_hi:[1,0,0]
	v_pk_fma_f32 v[160:161], v[42:43], s[6:7], v[154:155]
	v_pk_fma_f32 v[98:99], v[42:43], s[14:15], v[98:99] neg_lo:[0,0,1] neg_hi:[0,0,1]
	v_mov_b32_e32 v159, v161
	v_pk_add_f32 v[158:159], v[40:41], v[158:159]
	v_mov_b32_e32 v137, v99
	v_pk_add_f32 v[158:159], v[164:165], v[158:159]
	v_pk_mul_f32 v[164:165], v[116:117], s[38:39]
	v_pk_fma_f32 v[98:99], v[94:95], s[8:9], v[140:141] neg_lo:[0,0,1] neg_hi:[0,0,1]
	v_pk_fma_f32 v[168:169], v[124:125], s[18:19], v[164:165] neg_lo:[1,0,0] neg_hi:[1,0,0]
	v_pk_fma_f32 v[170:171], v[124:125], s[18:19], v[164:165]
	v_mov_b32_e32 v145, v99
	v_mov_b32_e32 v169, v171
	v_pk_add_f32 v[158:159], v[168:169], v[158:159]
	v_pk_mul_f32 v[168:169], v[114:115], s[26:27]
	v_pk_add_f32 v[98:99], v[40:41], v[136:137]
	v_pk_fma_f32 v[172:173], v[128:129], s[2:3], v[168:169] neg_lo:[1,0,0] neg_hi:[1,0,0]
	v_pk_fma_f32 v[174:175], v[128:129], s[2:3], v[168:169]
	v_pk_add_f32 v[98:99], v[144:145], v[98:99]
	v_mov_b32_e32 v173, v175
	v_pk_add_f32 v[158:159], v[172:173], v[158:159]
	v_pk_mul_f32 v[172:173], v[112:113], s[28:29]
	s_nop 0
	v_pk_fma_f32 v[176:177], v[132:133], s[8:9], v[172:173] neg_lo:[1,0,0] neg_hi:[1,0,0]
	v_pk_fma_f32 v[178:179], v[132:133], s[8:9], v[172:173]
	s_nop 0
	v_mov_b32_e32 v177, v179
	v_pk_add_f32 v[158:159], v[176:177], v[158:159]
	ds_write2_b64 v85, v[118:119], v[158:159] offset0:114 offset1:235
	v_pk_mul_f32 v[118:119], v[120:121], s[28:29]
	v_pk_mul_f32 v[120:121], v[120:121], s[30:31]
	v_pk_fma_f32 v[158:159], v[102:103], s[8:9], v[118:119] neg_lo:[1,0,0] neg_hi:[1,0,0]
	v_pk_fma_f32 v[176:177], v[42:43], s[8:9], v[118:119]
	v_pk_fma_f32 v[102:103], v[102:103], s[12:13], v[120:121] neg_lo:[1,0,0] neg_hi:[1,0,0]
	v_mov_b32_e32 v159, v177
	v_pk_add_f32 v[158:159], v[40:41], v[158:159]
	s_nop 0
	v_pk_add_f32 v[158:159], v[182:183], v[158:159]
	v_pk_mul_f32 v[182:183], v[116:117], s[26:27]
	v_pk_mul_f32 v[116:117], v[116:117], s[28:29]
	v_pk_fma_f32 v[186:187], v[124:125], s[2:3], v[182:183] neg_lo:[1,0,0] neg_hi:[1,0,0]
	v_pk_fma_f32 v[188:189], v[124:125], s[2:3], v[182:183]
	v_pk_fma_f32 v[202:203], v[124:125], s[8:9], v[116:117]
	v_mov_b32_e32 v187, v189
	v_pk_add_f32 v[158:159], v[186:187], v[158:159]
	v_pk_mul_f32 v[186:187], v[114:115], s[30:31]
	v_pk_mul_f32 v[114:115], v[114:115], s[38:39]
	v_pk_fma_f32 v[190:191], v[128:129], s[12:13], v[186:187] neg_lo:[1,0,0] neg_hi:[1,0,0]
	v_pk_fma_f32 v[192:193], v[128:129], s[12:13], v[186:187]
	v_pk_fma_f32 v[204:205], v[128:129], s[18:19], v[114:115]
	v_mov_b32_e32 v191, v193
	;; [unrolled: 7-line block ×3, first 2 shown]
	v_pk_add_f32 v[158:159], v[194:195], v[158:159]
	v_pk_fma_f32 v[194:195], v[42:43], s[12:13], v[120:121]
	s_nop 0
	v_mov_b32_e32 v103, v195
	v_pk_add_f32 v[102:103], v[40:41], v[102:103]
	s_nop 0
	v_pk_add_f32 v[102:103], v[198:199], v[102:103]
	v_pk_fma_f32 v[198:199], v[124:125], s[8:9], v[116:117] neg_lo:[1,0,0] neg_hi:[1,0,0]
	s_nop 0
	v_mov_b32_e32 v199, v203
	v_pk_add_f32 v[102:103], v[198:199], v[102:103]
	v_pk_fma_f32 v[198:199], v[128:129], s[18:19], v[114:115] neg_lo:[1,0,0] neg_hi:[1,0,0]
	s_nop 0
	v_mov_b32_e32 v199, v205
	;; [unrolled: 4-line block ×3, first 2 shown]
	v_pk_add_f32 v[102:103], v[198:199], v[102:103]
	ds_write2_b64 v83, v[158:159], v[102:103] offset0:100 offset1:221
	v_pk_fma_f32 v[102:103], v[42:43], s[12:13], v[120:121] neg_lo:[0,0,1] neg_hi:[0,0,1]
	s_nop 0
	v_mov_b32_e32 v195, v103
	v_pk_fma_f32 v[102:103], v[94:95], s[16:17], v[110:111] neg_lo:[0,0,1] neg_hi:[0,0,1]
	v_pk_fma_f32 v[110:111], v[124:125], s[8:9], v[116:117] neg_lo:[0,0,1] neg_hi:[0,0,1]
	v_mov_b32_e32 v201, v103
	v_mov_b32_e32 v203, v111
	v_pk_fma_f32 v[110:111], v[128:129], s[18:19], v[114:115] neg_lo:[0,0,1] neg_hi:[0,0,1]
	v_pk_add_f32 v[102:103], v[40:41], v[194:195]
	v_mov_b32_e32 v205, v111
	v_pk_fma_f32 v[110:111], v[132:133], s[6:7], v[112:113] neg_lo:[0,0,1] neg_hi:[0,0,1]
	v_pk_fma_f32 v[112:113], v[124:125], s[2:3], v[182:183] neg_lo:[0,0,1] neg_hi:[0,0,1]
	v_mov_b32_e32 v207, v111
	v_pk_fma_f32 v[110:111], v[42:43], s[8:9], v[118:119] neg_lo:[0,0,1] neg_hi:[0,0,1]
	v_pk_add_f32 v[102:103], v[200:201], v[102:103]
	v_mov_b32_e32 v177, v111
	v_pk_fma_f32 v[110:111], v[94:95], s[20:21], v[180:181] neg_lo:[0,0,1] neg_hi:[0,0,1]
	v_mov_b32_e32 v189, v113
	v_mov_b32_e32 v185, v111
	v_pk_add_f32 v[110:111], v[40:41], v[176:177]
	v_pk_fma_f32 v[112:113], v[128:129], s[12:13], v[186:187] neg_lo:[0,0,1] neg_hi:[0,0,1]
	v_pk_add_f32 v[110:111], v[184:185], v[110:111]
	v_pk_add_f32 v[102:103], v[202:203], v[102:103]
	;; [unrolled: 1-line block ×3, first 2 shown]
	v_mov_b32_e32 v193, v113
	v_pk_fma_f32 v[112:113], v[132:133], s[18:19], v[190:191] neg_lo:[0,0,1] neg_hi:[0,0,1]
	v_pk_add_f32 v[102:103], v[204:205], v[102:103]
	v_pk_add_f32 v[110:111], v[192:193], v[110:111]
	v_mov_b32_e32 v197, v113
	v_pk_add_f32 v[102:103], v[206:207], v[102:103]
	v_pk_add_f32 v[110:111], v[196:197], v[110:111]
	ds_write2_b64 v79, v[102:103], v[110:111] offset0:86 offset1:207
	v_pk_fma_f32 v[110:111], v[124:125], s[18:19], v[164:165] neg_lo:[0,0,1] neg_hi:[0,0,1]
	v_pk_fma_f32 v[102:103], v[42:43], s[6:7], v[154:155] neg_lo:[0,0,1] neg_hi:[0,0,1]
	v_mov_b32_e32 v171, v111
	v_pk_fma_f32 v[110:111], v[128:129], s[2:3], v[168:169] neg_lo:[0,0,1] neg_hi:[0,0,1]
	v_pk_fma_f32 v[42:43], v[42:43], s[2:3], v[96:97] neg_lo:[0,0,1] neg_hi:[0,0,1]
	v_mov_b32_e32 v161, v103
	v_pk_fma_f32 v[102:103], v[94:95], s[22:23], v[162:163] neg_lo:[0,0,1] neg_hi:[0,0,1]
	v_mov_b32_e32 v175, v111
	;; [unrolled: 2-line block ×4, first 2 shown]
	v_pk_add_f32 v[102:103], v[40:41], v[160:161]
	v_mov_b32_e32 v179, v111
	v_pk_fma_f32 v[110:111], v[124:125], s[22:23], v[142:143] neg_lo:[0,0,1] neg_hi:[0,0,1]
	v_pk_add_f32 v[40:41], v[40:41], v[108:109]
	v_mov_b32_e32 v127, v43
	v_pk_fma_f32 v[42:43], v[124:125], s[6:7], v[100:101] neg_lo:[0,0,1] neg_hi:[0,0,1]
	;; [unrolled: 3-line block ×4, first 2 shown]
	v_pk_add_f32 v[102:103], v[170:171], v[102:103]
	v_pk_add_f32 v[98:99], v[148:149], v[98:99]
	v_mov_b32_e32 v153, v111
	v_pk_fma_f32 v[110:111], v[132:133], s[16:17], v[150:151] neg_lo:[0,0,1] neg_hi:[0,0,1]
	v_pk_add_f32 v[40:41], v[130:131], v[40:41]
	v_mov_b32_e32 v135, v43
	v_pk_fma_f32 v[42:43], v[132:133], s[12:13], v[106:107] neg_lo:[0,0,1] neg_hi:[0,0,1]
	v_pk_add_f32 v[102:103], v[174:175], v[102:103]
	v_pk_add_f32 v[98:99], v[152:153], v[98:99]
	v_mov_b32_e32 v157, v111
	v_pk_add_f32 v[40:41], v[134:135], v[40:41]
	v_mov_b32_e32 v139, v43
	v_pk_add_f32 v[102:103], v[178:179], v[102:103]
	v_pk_add_f32 v[98:99], v[156:157], v[98:99]
	;; [unrolled: 1-line block ×3, first 2 shown]
	ds_write2_b64 v77, v[102:103], v[98:99] offset0:72 offset1:193
	ds_write_b64 v73, v[40:41] offset:9680
	s_waitcnt lgkmcnt(0)
	s_barrier
	global_load_dwordx2 v[80:81], v[80:81], off offset:2456
	v_lshl_add_u64 v[40:41], v[70:71], 0, s[10:11]
	global_load_dwordx2 v[98:99], v[40:41], off offset:968
	global_load_dwordx2 v[100:101], v[40:41], off offset:1936
	;; [unrolled: 1-line block ×3, first 2 shown]
	s_movk_i32 s10, 0x3000
	global_load_dwordx2 v[104:105], v[40:41], off offset:3872
	v_add_co_u32_e32 v40, vcc, s10, v70
	s_movk_i32 s10, 0x4000
	s_nop 0
	v_addc_co_u32_e32 v41, vcc, 0, v71, vcc
	global_load_dwordx2 v[106:107], v[40:41], off offset:3200
	v_add_co_u32_e32 v40, vcc, s10, v70
	s_mov_b32 s10, s15
	s_nop 0
	v_addc_co_u32_e32 v41, vcc, 0, v71, vcc
	global_load_dwordx2 v[70:71], v[40:41], off offset:72
	global_load_dwordx2 v[108:109], v[40:41], off offset:1040
	;; [unrolled: 1-line block ×5, first 2 shown]
	ds_read2_b64 v[40:43], v73 offset1:121
	ds_read2_b64 v[94:97], v85 offset0:114 offset1:235
	s_waitcnt vmcnt(10) lgkmcnt(1)
	v_mul_f32_e32 v23, v41, v81
	v_fma_f32 v116, v40, v80, -v23
	v_mul_f32_e32 v117, v40, v81
	s_waitcnt vmcnt(9)
	v_mul_f32_e32 v23, v43, v99
	v_mul_f32_e32 v81, v42, v99
	v_fmac_f32_e32 v117, v41, v80
	v_fma_f32 v80, v42, v98, -v23
	v_fmac_f32_e32 v81, v43, v98
	ds_read2_b64 v[40:43], v83 offset0:100 offset1:221
	s_waitcnt vmcnt(8) lgkmcnt(1)
	v_mul_f32_e32 v23, v95, v101
	v_fma_f32 v98, v94, v100, -v23
	v_mul_f32_e32 v99, v94, v101
	s_waitcnt vmcnt(7)
	v_mul_f32_e32 v23, v97, v103
	v_mul_f32_e32 v101, v96, v103
	v_fmac_f32_e32 v99, v95, v100
	v_fma_f32 v100, v96, v102, -v23
	v_fmac_f32_e32 v101, v97, v102
	s_waitcnt vmcnt(6) lgkmcnt(0)
	v_mul_f32_e32 v23, v41, v105
	ds_read2_b64 v[94:97], v79 offset0:86 offset1:207
	v_fma_f32 v102, v40, v104, -v23
	v_mul_f32_e32 v103, v40, v105
	s_waitcnt vmcnt(5)
	v_mul_f32_e32 v23, v43, v107
	v_mul_f32_e32 v105, v42, v107
	v_fmac_f32_e32 v103, v41, v104
	v_fma_f32 v104, v42, v106, -v23
	v_fmac_f32_e32 v105, v43, v106
	ds_read2_b64 v[40:43], v77 offset0:72 offset1:193
	s_waitcnt vmcnt(4) lgkmcnt(1)
	v_mul_f32_e32 v23, v95, v71
	v_fma_f32 v106, v94, v70, -v23
	v_mul_f32_e32 v107, v94, v71
	s_waitcnt vmcnt(3)
	v_mul_f32_e32 v23, v97, v109
	v_fmac_f32_e32 v107, v95, v70
	v_fma_f32 v70, v96, v108, -v23
	s_waitcnt vmcnt(2) lgkmcnt(0)
	v_mul_f32_e32 v23, v41, v111
	v_mul_f32_e32 v95, v40, v111
	v_fma_f32 v94, v40, v110, -v23
	v_fmac_f32_e32 v95, v41, v110
	s_waitcnt vmcnt(1)
	v_mul_f32_e32 v23, v43, v113
	v_mul_f32_e32 v41, v42, v113
	v_fma_f32 v40, v42, v112, -v23
	v_fmac_f32_e32 v41, v43, v112
	ds_read_b64 v[42:43], v73 offset:9680
	v_mul_f32_e32 v71, v96, v109
	v_fmac_f32_e32 v71, v97, v108
	ds_write2_b64 v73, v[116:117], v[80:81] offset1:121
	ds_write2_b64 v85, v[98:99], v[100:101] offset0:114 offset1:235
	ds_write2_b64 v83, v[102:103], v[104:105] offset0:100 offset1:221
	;; [unrolled: 1-line block ×4, first 2 shown]
	s_waitcnt vmcnt(0) lgkmcnt(5)
	v_mul_f32_e32 v23, v43, v115
	v_mul_f32_e32 v41, v42, v115
	v_fma_f32 v40, v42, v114, -v23
	v_fmac_f32_e32 v41, v43, v114
	ds_write_b64 v73, v[40:41] offset:9680
	s_waitcnt lgkmcnt(0)
	s_barrier
	ds_read2_b64 v[40:43], v73 offset1:121
	ds_read2_b64 v[94:97], v85 offset0:114 offset1:235
	ds_read2_b64 v[98:101], v83 offset0:100 offset1:221
	;; [unrolled: 1-line block ×4, first 2 shown]
	s_waitcnt lgkmcnt(4)
	v_pk_add_f32 v[70:71], v[40:41], v[42:43]
	ds_read_b64 v[80:81], v73 offset:9680
	s_waitcnt lgkmcnt(4)
	v_pk_add_f32 v[70:71], v[70:71], v[94:95]
	s_waitcnt lgkmcnt(2)
	v_pk_add_f32 v[110:111], v[104:105], v[98:99]
	v_pk_add_f32 v[70:71], v[70:71], v[96:97]
	v_pk_add_f32 v[112:113], v[98:99], v[104:105] neg_lo:[0,1] neg_hi:[0,1]
	v_pk_add_f32 v[70:71], v[70:71], v[98:99]
	s_waitcnt lgkmcnt(0)
	v_pk_add_f32 v[124:125], v[42:43], v[80:81] neg_lo:[0,1] neg_hi:[0,1]
	v_pk_add_f32 v[70:71], v[70:71], v[100:101]
	v_pk_add_f32 v[118:119], v[94:95], v[108:109] neg_lo:[0,1] neg_hi:[0,1]
	v_pk_add_f32 v[70:71], v[70:71], v[102:103]
	v_pk_add_f32 v[120:121], v[106:107], v[96:97]
	;; [unrolled: 1-line block ×5, first 2 shown]
	v_pk_add_f32 v[122:123], v[96:97], v[106:107] neg_lo:[0,1] neg_hi:[0,1]
	v_pk_add_f32 v[70:71], v[70:71], v[108:109]
	v_pk_add_f32 v[108:109], v[80:81], v[42:43]
	;; [unrolled: 1-line block ×3, first 2 shown]
	v_pk_mul_f32 v[70:71], v[124:125], s[2:3] op_sel_hi:[1,0]
	v_pk_mul_f32 v[94:95], v[118:119], s[14:15] op_sel_hi:[1,0]
	v_pk_fma_f32 v[42:43], v[108:109], s[26:27], v[70:71] op_sel:[0,0,1] op_sel_hi:[1,0,0]
	v_pk_fma_f32 v[70:71], v[108:109], s[26:27], v[70:71] op_sel:[0,0,1] op_sel_hi:[1,0,0] neg_lo:[0,0,1] neg_hi:[0,0,1]
	v_mov_b32_e32 v80, v42
	v_mov_b32_e32 v81, v71
	v_pk_add_f32 v[96:97], v[40:41], v[80:81]
	v_pk_fma_f32 v[80:81], v[104:105], s[10:11], v[94:95] op_sel:[0,0,1] op_sel_hi:[1,0,0]
	v_pk_fma_f32 v[94:95], v[104:105], s[10:11], v[94:95] op_sel:[0,0,1] op_sel_hi:[1,0,0] neg_lo:[0,0,1] neg_hi:[0,0,1]
	v_mov_b32_e32 v98, v80
	v_mov_b32_e32 v99, v95
	v_pk_add_f32 v[114:115], v[102:103], v[100:101]
	v_pk_add_f32 v[116:117], v[100:101], v[102:103] neg_lo:[0,1] neg_hi:[0,1]
	v_pk_add_f32 v[100:101], v[98:99], v[96:97]
	v_pk_mul_f32 v[98:99], v[122:123], s[6:7] op_sel_hi:[1,0]
	s_nop 0
	v_pk_fma_f32 v[96:97], v[120:121], s[24:25], v[98:99] op_sel:[0,0,1] op_sel_hi:[1,0,0]
	v_pk_fma_f32 v[98:99], v[120:121], s[24:25], v[98:99] op_sel:[0,0,1] op_sel_hi:[1,0,0] neg_lo:[0,0,1] neg_hi:[0,0,1]
	v_mov_b32_e32 v102, v96
	v_mov_b32_e32 v103, v99
	v_pk_add_f32 v[126:127], v[102:103], v[100:101]
	v_pk_mul_f32 v[102:103], v[112:113], s[8:9] op_sel_hi:[1,0]
	s_barrier
	v_pk_fma_f32 v[100:101], v[110:111], s[28:29], v[102:103] op_sel:[0,0,1] op_sel_hi:[1,0,0]
	v_pk_fma_f32 v[102:103], v[110:111], s[28:29], v[102:103] op_sel:[0,0,1] op_sel_hi:[1,0,0] neg_lo:[0,0,1] neg_hi:[0,0,1]
	v_mov_b32_e32 v128, v100
	v_mov_b32_e32 v129, v103
	v_pk_add_f32 v[126:127], v[128:129], v[126:127]
	v_pk_mul_f32 v[128:129], v[116:117], s[12:13] op_sel_hi:[1,0]
	s_nop 0
	v_pk_fma_f32 v[130:131], v[114:115], s[30:31], v[128:129] op_sel:[0,0,1] op_sel_hi:[1,0,0]
	v_pk_fma_f32 v[128:129], v[114:115], s[30:31], v[128:129] op_sel:[0,0,1] op_sel_hi:[1,0,0] neg_lo:[0,0,1] neg_hi:[0,0,1]
	v_mov_b32_e32 v132, v130
	v_mov_b32_e32 v133, v129
	v_pk_add_f32 v[126:127], v[132:133], v[126:127]
	ds_write2_b64 v51, v[106:107], v[126:127] offset1:1
	v_pk_mul_f32 v[106:107], v[124:125], s[14:15] op_sel_hi:[1,0]
	v_pk_mul_f32 v[134:135], v[118:119], s[8:9] op_sel_hi:[1,0]
	v_pk_fma_f32 v[126:127], v[108:109], s[10:11], v[106:107] op_sel:[0,0,1] op_sel_hi:[1,0,0]
	v_pk_fma_f32 v[106:107], v[108:109], s[10:11], v[106:107] op_sel:[0,0,1] op_sel_hi:[1,0,0] neg_lo:[0,0,1] neg_hi:[0,0,1]
	v_mov_b32_e32 v132, v126
	v_mov_b32_e32 v133, v107
	v_pk_fma_f32 v[136:137], v[104:105], s[28:29], v[134:135] op_sel:[0,0,1] op_sel_hi:[1,0,0]
	v_pk_fma_f32 v[134:135], v[104:105], s[28:29], v[134:135] op_sel:[0,0,1] op_sel_hi:[1,0,0] neg_lo:[0,0,1] neg_hi:[0,0,1]
	v_pk_add_f32 v[132:133], v[40:41], v[132:133]
	v_mov_b32_e32 v138, v136
	v_mov_b32_e32 v139, v135
	v_pk_add_f32 v[132:133], v[138:139], v[132:133]
	v_pk_mul_f32 v[138:139], v[122:123], s[22:23] op_sel_hi:[1,0]
	v_pk_mul_f32 v[156:157], v[118:119], s[22:23] op_sel_hi:[1,0]
	v_pk_fma_f32 v[140:141], v[120:121], s[30:31], v[138:139] op_sel:[0,0,1] op_sel_hi:[1,0,0]
	v_pk_fma_f32 v[138:139], v[120:121], s[30:31], v[138:139] op_sel:[0,0,1] op_sel_hi:[1,0,0] neg_lo:[0,0,1] neg_hi:[0,0,1]
	v_mov_b32_e32 v142, v140
	v_mov_b32_e32 v143, v139
	v_pk_add_f32 v[132:133], v[142:143], v[132:133]
	v_pk_mul_f32 v[142:143], v[112:113], s[20:21] op_sel_hi:[1,0]
	v_pk_fma_f32 v[158:159], v[104:105], s[30:31], v[156:157] op_sel:[0,0,1] op_sel_hi:[1,0,0]
	v_pk_fma_f32 v[144:145], v[110:111], s[24:25], v[142:143] op_sel:[0,0,1] op_sel_hi:[1,0,0]
	v_pk_fma_f32 v[142:143], v[110:111], s[24:25], v[142:143] op_sel:[0,0,1] op_sel_hi:[1,0,0] neg_lo:[0,0,1] neg_hi:[0,0,1]
	v_mov_b32_e32 v146, v144
	v_mov_b32_e32 v147, v143
	v_pk_add_f32 v[132:133], v[146:147], v[132:133]
	v_pk_mul_f32 v[146:147], v[116:117], s[16:17] op_sel_hi:[1,0]
	v_pk_fma_f32 v[156:157], v[104:105], s[30:31], v[156:157] op_sel:[0,0,1] op_sel_hi:[1,0,0] neg_lo:[0,0,1] neg_hi:[0,0,1]
	v_pk_fma_f32 v[148:149], v[114:115], s[26:27], v[146:147] op_sel:[0,0,1] op_sel_hi:[1,0,0]
	v_pk_fma_f32 v[146:147], v[114:115], s[26:27], v[146:147] op_sel:[0,0,1] op_sel_hi:[1,0,0] neg_lo:[0,0,1] neg_hi:[0,0,1]
	v_mov_b32_e32 v150, v148
	v_mov_b32_e32 v151, v147
	v_pk_add_f32 v[132:133], v[150:151], v[132:133]
	v_pk_mul_f32 v[150:151], v[124:125], s[6:7] op_sel_hi:[1,0]
	v_mov_b32_e32 v160, v158
	v_pk_fma_f32 v[152:153], v[108:109], s[24:25], v[150:151] op_sel:[0,0,1] op_sel_hi:[1,0,0]
	v_pk_fma_f32 v[150:151], v[108:109], s[24:25], v[150:151] op_sel:[0,0,1] op_sel_hi:[1,0,0] neg_lo:[0,0,1] neg_hi:[0,0,1]
	v_mov_b32_e32 v154, v152
	v_mov_b32_e32 v155, v151
	v_pk_add_f32 v[154:155], v[40:41], v[154:155]
	v_mov_b32_e32 v161, v157
	v_pk_add_f32 v[154:155], v[160:161], v[154:155]
	v_pk_mul_f32 v[160:161], v[122:123], s[18:19] op_sel_hi:[1,0]
	v_pk_mul_f32 v[174:175], v[118:119], s[20:21] op_sel_hi:[1,0]
	v_pk_fma_f32 v[162:163], v[120:121], s[10:11], v[160:161] op_sel:[0,0,1] op_sel_hi:[1,0,0]
	v_pk_fma_f32 v[160:161], v[120:121], s[10:11], v[160:161] op_sel:[0,0,1] op_sel_hi:[1,0,0] neg_lo:[0,0,1] neg_hi:[0,0,1]
	v_mov_b32_e32 v164, v162
	v_mov_b32_e32 v165, v161
	v_pk_add_f32 v[154:155], v[164:165], v[154:155]
	v_pk_mul_f32 v[164:165], v[112:113], s[2:3] op_sel_hi:[1,0]
	v_pk_fma_f32 v[176:177], v[104:105], s[24:25], v[174:175] op_sel:[0,0,1] op_sel_hi:[1,0,0]
	v_pk_fma_f32 v[166:167], v[110:111], s[26:27], v[164:165] op_sel:[0,0,1] op_sel_hi:[1,0,0]
	v_pk_fma_f32 v[164:165], v[110:111], s[26:27], v[164:165] op_sel:[0,0,1] op_sel_hi:[1,0,0] neg_lo:[0,0,1] neg_hi:[0,0,1]
	v_mov_b32_e32 v168, v166
	v_mov_b32_e32 v169, v165
	v_pk_add_f32 v[154:155], v[168:169], v[154:155]
	v_pk_mul_f32 v[168:169], v[116:117], s[8:9] op_sel_hi:[1,0]
	v_pk_fma_f32 v[174:175], v[104:105], s[24:25], v[174:175] op_sel:[0,0,1] op_sel_hi:[1,0,0] neg_lo:[0,0,1] neg_hi:[0,0,1]
	v_pk_fma_f32 v[170:171], v[114:115], s[28:29], v[168:169] op_sel:[0,0,1] op_sel_hi:[1,0,0]
	v_pk_fma_f32 v[168:169], v[114:115], s[28:29], v[168:169] op_sel:[0,0,1] op_sel_hi:[1,0,0] neg_lo:[0,0,1] neg_hi:[0,0,1]
	v_mov_b32_e32 v172, v170
	v_mov_b32_e32 v173, v169
	v_pk_add_f32 v[154:155], v[172:173], v[154:155]
	ds_write2_b64 v51, v[132:133], v[154:155] offset0:2 offset1:3
	v_pk_mul_f32 v[132:133], v[124:125], s[8:9] op_sel_hi:[1,0]
	v_mov_b32_e32 v178, v176
	v_pk_fma_f32 v[154:155], v[108:109], s[28:29], v[132:133] op_sel:[0,0,1] op_sel_hi:[1,0,0]
	v_pk_fma_f32 v[132:133], v[108:109], s[28:29], v[132:133] op_sel:[0,0,1] op_sel_hi:[1,0,0] neg_lo:[0,0,1] neg_hi:[0,0,1]
	v_mov_b32_e32 v172, v154
	v_mov_b32_e32 v173, v133
	v_pk_add_f32 v[172:173], v[40:41], v[172:173]
	v_mov_b32_e32 v179, v175
	v_pk_add_f32 v[172:173], v[178:179], v[172:173]
	v_pk_mul_f32 v[178:179], v[122:123], s[2:3] op_sel_hi:[1,0]
	v_pk_mul_f32 v[124:125], v[124:125], s[12:13] op_sel_hi:[1,0]
	v_pk_fma_f32 v[180:181], v[120:121], s[26:27], v[178:179] op_sel:[0,0,1] op_sel_hi:[1,0,0]
	v_pk_fma_f32 v[178:179], v[120:121], s[26:27], v[178:179] op_sel:[0,0,1] op_sel_hi:[1,0,0] neg_lo:[0,0,1] neg_hi:[0,0,1]
	v_mov_b32_e32 v182, v180
	v_mov_b32_e32 v183, v179
	v_pk_add_f32 v[172:173], v[182:183], v[172:173]
	v_pk_mul_f32 v[182:183], v[112:113], s[12:13] op_sel_hi:[1,0]
	v_pk_mul_f32 v[118:119], v[118:119], s[16:17] op_sel_hi:[1,0]
	v_pk_fma_f32 v[184:185], v[110:111], s[30:31], v[182:183] op_sel:[0,0,1] op_sel_hi:[1,0,0]
	v_pk_fma_f32 v[182:183], v[110:111], s[30:31], v[182:183] op_sel:[0,0,1] op_sel_hi:[1,0,0] neg_lo:[0,0,1] neg_hi:[0,0,1]
	v_mov_b32_e32 v186, v184
	;; [unrolled: 7-line block ×3, first 2 shown]
	v_mov_b32_e32 v191, v187
	v_pk_add_f32 v[172:173], v[190:191], v[172:173]
	v_pk_fma_f32 v[190:191], v[108:109], s[30:31], v[124:125] op_sel:[0,0,1] op_sel_hi:[1,0,0]
	v_pk_fma_f32 v[108:109], v[108:109], s[30:31], v[124:125] op_sel:[0,0,1] op_sel_hi:[1,0,0] neg_lo:[0,0,1] neg_hi:[0,0,1]
	v_pk_fma_f32 v[124:125], v[104:105], s[26:27], v[118:119] op_sel:[0,0,1] op_sel_hi:[1,0,0]
	v_pk_fma_f32 v[104:105], v[104:105], s[26:27], v[118:119] op_sel:[0,0,1] op_sel_hi:[1,0,0] neg_lo:[0,0,1] neg_hi:[0,0,1]
	v_mov_b32_e32 v118, v190
	v_mov_b32_e32 v119, v109
	v_pk_add_f32 v[118:119], v[40:41], v[118:119]
	v_mov_b32_e32 v192, v124
	v_mov_b32_e32 v193, v105
	v_pk_add_f32 v[118:119], v[192:193], v[118:119]
	v_pk_fma_f32 v[192:193], v[120:121], s[28:29], v[122:123] op_sel:[0,0,1] op_sel_hi:[1,0,0]
	v_pk_fma_f32 v[120:121], v[120:121], s[28:29], v[122:123] op_sel:[0,0,1] op_sel_hi:[1,0,0] neg_lo:[0,0,1] neg_hi:[0,0,1]
	v_mov_b32_e32 v109, v191
	v_mov_b32_e32 v122, v192
	;; [unrolled: 1-line block ×3, first 2 shown]
	v_pk_mul_f32 v[112:113], v[112:113], s[18:19] op_sel_hi:[1,0]
	v_mov_b32_e32 v105, v125
	v_pk_add_f32 v[108:109], v[40:41], v[108:109]
	v_mov_b32_e32 v133, v155
	v_pk_add_f32 v[118:119], v[122:123], v[118:119]
	v_pk_fma_f32 v[122:123], v[110:111], s[10:11], v[112:113] op_sel:[0,0,1] op_sel_hi:[1,0,0]
	v_pk_fma_f32 v[110:111], v[110:111], s[10:11], v[112:113] op_sel:[0,0,1] op_sel_hi:[1,0,0] neg_lo:[0,0,1] neg_hi:[0,0,1]
	v_pk_add_f32 v[104:105], v[104:105], v[108:109]
	v_mov_b32_e32 v175, v177
	v_pk_add_f32 v[108:109], v[40:41], v[132:133]
	v_mov_b32_e32 v112, v122
	v_mov_b32_e32 v113, v111
	v_pk_mul_f32 v[116:117], v[116:117], s[6:7] op_sel_hi:[1,0]
	v_mov_b32_e32 v121, v193
	v_pk_add_f32 v[108:109], v[174:175], v[108:109]
	v_mov_b32_e32 v179, v181
	v_pk_add_f32 v[112:113], v[112:113], v[118:119]
	v_pk_fma_f32 v[118:119], v[114:115], s[24:25], v[116:117] op_sel:[0,0,1] op_sel_hi:[1,0,0]
	v_pk_fma_f32 v[114:115], v[114:115], s[24:25], v[116:117] op_sel:[0,0,1] op_sel_hi:[1,0,0] neg_lo:[0,0,1] neg_hi:[0,0,1]
	v_pk_add_f32 v[104:105], v[120:121], v[104:105]
	v_mov_b32_e32 v111, v123
	v_pk_add_f32 v[108:109], v[178:179], v[108:109]
	v_mov_b32_e32 v183, v185
	v_mov_b32_e32 v117, v115
	v_pk_add_f32 v[104:105], v[110:111], v[104:105]
	v_mov_b32_e32 v115, v119
	v_pk_add_f32 v[108:109], v[182:183], v[108:109]
	;; [unrolled: 2-line block ×3, first 2 shown]
	v_pk_add_f32 v[108:109], v[186:187], v[108:109]
	v_mov_b32_e32 v151, v153
	v_mov_b32_e32 v107, v127
	;; [unrolled: 1-line block ×3, first 2 shown]
	ds_write2_b64 v51, v[104:105], v[108:109] offset0:6 offset1:7
	v_mov_b32_e32 v157, v159
	v_pk_add_f32 v[104:105], v[40:41], v[150:151]
	v_mov_b32_e32 v135, v137
	v_pk_add_f32 v[106:107], v[40:41], v[106:107]
	v_pk_add_f32 v[40:41], v[40:41], v[70:71]
	v_mov_b32_e32 v95, v81
	v_pk_add_f32 v[104:105], v[156:157], v[104:105]
	v_mov_b32_e32 v161, v163
	;; [unrolled: 2-line block ×7, first 2 shown]
	v_mov_b32_e32 v116, v118
	v_pk_add_f32 v[104:105], v[164:165], v[104:105]
	v_mov_b32_e32 v169, v171
	v_pk_add_f32 v[106:107], v[142:143], v[106:107]
	;; [unrolled: 2-line block ×4, first 2 shown]
	v_pk_add_f32 v[104:105], v[168:169], v[104:105]
	v_pk_add_f32 v[106:107], v[146:147], v[106:107]
	;; [unrolled: 1-line block ×3, first 2 shown]
	ds_write2_b64 v51, v[172:173], v[112:113] offset0:4 offset1:5
	ds_write2_b64 v51, v[104:105], v[106:107] offset0:8 offset1:9
	ds_write_b64 v51, v[40:41] offset:80
	s_waitcnt lgkmcnt(0)
	s_barrier
	ds_read_b64 v[70:71], v73 offset:9680
	ds_read2_b64 v[40:43], v77 offset0:72 offset1:193
	ds_read2_b64 v[94:97], v79 offset0:86 offset1:207
	v_mov_b32_e32 v51, v64
	s_waitcnt lgkmcnt(2)
	v_pk_mul_f32 v[80:81], v[82:83], v[70:71] op_sel_hi:[0,1]
	v_pk_fma_f32 v[98:99], v[18:19], v[70:71], v[80:81] op_sel:[0,0,1] op_sel_hi:[1,1,0]
	v_pk_fma_f32 v[18:19], v[18:19], v[70:71], v[80:81] op_sel:[0,0,1] op_sel_hi:[0,1,0] neg_lo:[0,0,1] neg_hi:[0,0,1]
	s_waitcnt lgkmcnt(1)
	v_pk_mul_f32 v[70:71], v[16:17], v[42:43] op_sel:[1,0]
	s_waitcnt lgkmcnt(0)
	v_pk_mul_f32 v[100:101], v[12:13], v[96:97] op_sel:[1,0]
	v_pk_fma_f32 v[80:81], v[16:17], v[42:43], v[70:71] op_sel:[0,0,1] op_sel_hi:[1,1,0]
	v_pk_fma_f32 v[42:43], v[16:17], v[42:43], v[70:71] op_sel:[0,0,1] op_sel_hi:[0,1,0] neg_lo:[0,0,1] neg_hi:[0,0,1]
	v_pk_mul_f32 v[16:17], v[78:79], v[40:41] op_sel_hi:[0,1]
	v_pk_fma_f32 v[70:71], v[14:15], v[40:41], v[16:17] op_sel:[0,0,1] op_sel_hi:[1,1,0]
	v_pk_fma_f32 v[40:41], v[14:15], v[40:41], v[16:17] op_sel:[0,0,1] op_sel_hi:[0,1,0] neg_lo:[0,0,1] neg_hi:[0,0,1]
	ds_read2_b64 v[14:17], v83 offset0:100 offset1:221
	v_pk_fma_f32 v[102:103], v[12:13], v[96:97], v[100:101] op_sel:[0,0,1] op_sel_hi:[1,1,0]
	v_pk_fma_f32 v[96:97], v[12:13], v[96:97], v[100:101] op_sel:[0,0,1] op_sel_hi:[0,1,0] neg_lo:[0,0,1] neg_hi:[0,0,1]
	v_pk_mul_f32 v[12:13], v[76:77], v[94:95] op_sel_hi:[0,1]
	v_pk_fma_f32 v[100:101], v[10:11], v[94:95], v[12:13] op_sel:[0,0,1] op_sel_hi:[1,1,0]
	v_pk_fma_f32 v[94:95], v[10:11], v[94:95], v[12:13] op_sel:[0,0,1] op_sel_hi:[0,1,0] neg_lo:[0,0,1] neg_hi:[0,0,1]
	s_waitcnt lgkmcnt(0)
	v_pk_mul_f32 v[104:105], v[8:9], v[16:17] op_sel:[1,0]
	ds_read2_b64 v[10:13], v85 offset0:114 offset1:235
	v_pk_fma_f32 v[106:107], v[8:9], v[16:17], v[104:105] op_sel:[0,0,1] op_sel_hi:[1,1,0]
	v_pk_fma_f32 v[16:17], v[8:9], v[16:17], v[104:105] op_sel:[0,0,1] op_sel_hi:[0,1,0] neg_lo:[0,0,1] neg_hi:[0,0,1]
	v_pk_mul_f32 v[8:9], v[74:75], v[14:15] op_sel_hi:[0,1]
	v_pk_fma_f32 v[104:105], v[6:7], v[14:15], v[8:9] op_sel:[0,0,1] op_sel_hi:[1,1,0]
	v_pk_fma_f32 v[14:15], v[6:7], v[14:15], v[8:9] op_sel:[0,0,1] op_sel_hi:[0,1,0] neg_lo:[0,0,1] neg_hi:[0,0,1]
	ds_read2_b64 v[6:9], v73 offset1:121
	s_waitcnt lgkmcnt(1)
	v_pk_mul_f32 v[108:109], v[4:5], v[12:13] op_sel:[1,0]
	v_mov_b32_e32 v105, v15
	v_pk_fma_f32 v[110:111], v[4:5], v[12:13], v[108:109] op_sel:[0,0,1] op_sel_hi:[1,1,0]
	v_pk_fma_f32 v[4:5], v[4:5], v[12:13], v[108:109] op_sel:[0,0,1] op_sel_hi:[0,1,0] neg_lo:[0,0,1] neg_hi:[0,0,1]
	v_pk_mul_f32 v[12:13], v[72:73], v[10:11] op_sel_hi:[0,1]
	v_pk_fma_f32 v[108:109], v[2:3], v[10:11], v[12:13] op_sel:[0,0,1] op_sel_hi:[1,1,0]
	v_pk_fma_f32 v[10:11], v[2:3], v[10:11], v[12:13] op_sel:[0,0,1] op_sel_hi:[0,1,0] neg_lo:[0,0,1] neg_hi:[0,0,1]
	s_waitcnt lgkmcnt(0)
	v_pk_mul_f32 v[12:13], v[0:1], v[8:9] op_sel:[1,0]
	v_mov_b32_e32 v109, v11
	v_pk_fma_f32 v[112:113], v[0:1], v[8:9], v[12:13] op_sel:[0,0,1] op_sel_hi:[1,1,0]
	v_pk_fma_f32 v[0:1], v[0:1], v[8:9], v[12:13] op_sel:[0,0,1] op_sel_hi:[0,1,0] neg_lo:[0,0,1] neg_hi:[0,0,1]
	v_mov_b32_e32 v113, v1
	v_pk_add_f32 v[0:1], v[6:7], v[112:113]
	v_mov_b32_e32 v111, v5
	v_pk_add_f32 v[0:1], v[0:1], v[108:109]
	;; [unrolled: 2-line block ×4, first 2 shown]
	v_mov_b32_e32 v101, v95
	v_mov_b32_e32 v81, v43
	v_pk_add_f32 v[0:1], v[0:1], v[106:107]
	v_pk_add_f32 v[8:9], v[112:113], v[98:99] neg_lo:[0,1] neg_hi:[0,1]
	v_mov_b32_e32 v103, v97
	v_pk_add_f32 v[0:1], v[0:1], v[100:101]
	v_pk_add_f32 v[4:5], v[112:113], v[98:99]
	v_pk_add_f32 v[12:13], v[108:109], v[80:81] neg_lo:[0,1] neg_hi:[0,1]
	v_pk_mul_f32 v[14:15], v[8:9], s[2:3] op_sel_hi:[1,0]
	v_mov_b32_e32 v71, v41
	v_pk_add_f32 v[0:1], v[0:1], v[102:103]
	v_pk_add_f32 v[10:11], v[108:109], v[80:81]
	v_pk_fma_f32 v[16:17], v[4:5], s[26:27], v[14:15] op_sel:[0,0,1] op_sel_hi:[1,0,0]
	v_pk_fma_f32 v[14:15], v[4:5], s[26:27], v[14:15] op_sel:[0,0,1] op_sel_hi:[1,0,0] neg_lo:[0,0,1] neg_hi:[0,0,1]
	v_pk_mul_f32 v[40:41], v[12:13], s[14:15] op_sel_hi:[1,0]
	v_pk_add_f32 v[0:1], v[0:1], v[70:71]
	v_mov_b32_e32 v18, v16
	v_mov_b32_e32 v19, v15
	v_pk_fma_f32 v[42:43], v[10:11], s[10:11], v[40:41] op_sel:[0,0,1] op_sel_hi:[1,0,0]
	v_pk_fma_f32 v[40:41], v[10:11], s[10:11], v[40:41] op_sel:[0,0,1] op_sel_hi:[1,0,0] neg_lo:[0,0,1] neg_hi:[0,0,1]
	v_pk_add_f32 v[0:1], v[0:1], v[80:81]
	v_pk_add_f32 v[18:19], v[6:7], v[18:19]
	v_mov_b32_e32 v80, v42
	v_mov_b32_e32 v81, v41
	v_pk_add_f32 v[18:19], v[80:81], v[18:19]
	v_pk_add_f32 v[80:81], v[110:111], v[70:71]
	v_pk_add_f32 v[70:71], v[110:111], v[70:71] neg_lo:[0,1] neg_hi:[0,1]
	v_pk_add_f32 v[0:1], v[0:1], v[98:99]
	v_pk_mul_f32 v[94:95], v[70:71], s[6:7] op_sel_hi:[1,0]
	s_nop 0
	v_pk_fma_f32 v[96:97], v[80:81], s[24:25], v[94:95] op_sel:[0,0,1] op_sel_hi:[1,0,0]
	v_pk_fma_f32 v[94:95], v[80:81], s[24:25], v[94:95] op_sel:[0,0,1] op_sel_hi:[1,0,0] neg_lo:[0,0,1] neg_hi:[0,0,1]
	v_mov_b32_e32 v98, v96
	v_mov_b32_e32 v99, v95
	v_pk_add_f32 v[18:19], v[98:99], v[18:19]
	v_pk_add_f32 v[98:99], v[104:105], v[102:103]
	v_pk_add_f32 v[102:103], v[104:105], v[102:103] neg_lo:[0,1] neg_hi:[0,1]
	s_barrier
	v_pk_mul_f32 v[104:105], v[102:103], s[8:9] op_sel_hi:[1,0]
	s_nop 0
	v_pk_fma_f32 v[108:109], v[98:99], s[28:29], v[104:105] op_sel:[0,0,1] op_sel_hi:[1,0,0]
	v_pk_fma_f32 v[104:105], v[98:99], s[28:29], v[104:105] op_sel:[0,0,1] op_sel_hi:[1,0,0] neg_lo:[0,0,1] neg_hi:[0,0,1]
	v_mov_b32_e32 v110, v108
	v_mov_b32_e32 v111, v105
	v_pk_add_f32 v[18:19], v[110:111], v[18:19]
	v_pk_add_f32 v[110:111], v[106:107], v[100:101]
	v_pk_add_f32 v[100:101], v[106:107], v[100:101] neg_lo:[0,1] neg_hi:[0,1]
	v_pk_mul_f32 v[116:117], v[12:13], s[8:9] op_sel_hi:[1,0]
	v_pk_mul_f32 v[106:107], v[100:101], s[12:13] op_sel_hi:[1,0]
	v_pk_fma_f32 v[118:119], v[10:11], s[28:29], v[116:117] op_sel:[0,0,1] op_sel_hi:[1,0,0]
	v_pk_fma_f32 v[112:113], v[110:111], s[30:31], v[106:107] op_sel:[0,0,1] op_sel_hi:[1,0,0]
	v_pk_fma_f32 v[106:107], v[110:111], s[30:31], v[106:107] op_sel:[0,0,1] op_sel_hi:[1,0,0] neg_lo:[0,0,1] neg_hi:[0,0,1]
	v_mov_b32_e32 v114, v112
	v_mov_b32_e32 v115, v107
	v_pk_add_f32 v[18:19], v[114:115], v[18:19]
	ds_write2_b64 v3, v[0:1], v[18:19] offset1:11
	v_pk_mul_f32 v[0:1], v[8:9], s[14:15] op_sel_hi:[1,0]
	v_pk_fma_f32 v[116:117], v[10:11], s[28:29], v[116:117] op_sel:[0,0,1] op_sel_hi:[1,0,0] neg_lo:[0,0,1] neg_hi:[0,0,1]
	v_pk_fma_f32 v[18:19], v[4:5], s[10:11], v[0:1] op_sel:[0,0,1] op_sel_hi:[1,0,0]
	v_pk_fma_f32 v[0:1], v[4:5], s[10:11], v[0:1] op_sel:[0,0,1] op_sel_hi:[1,0,0] neg_lo:[0,0,1] neg_hi:[0,0,1]
	v_mov_b32_e32 v114, v18
	v_mov_b32_e32 v115, v1
	v_pk_add_f32 v[114:115], v[6:7], v[114:115]
	v_mov_b32_e32 v120, v118
	v_mov_b32_e32 v121, v117
	v_pk_add_f32 v[114:115], v[120:121], v[114:115]
	v_pk_mul_f32 v[120:121], v[70:71], s[22:23] op_sel_hi:[1,0]
	v_pk_mul_f32 v[138:139], v[12:13], s[22:23] op_sel_hi:[1,0]
	v_pk_fma_f32 v[122:123], v[80:81], s[30:31], v[120:121] op_sel:[0,0,1] op_sel_hi:[1,0,0]
	v_pk_fma_f32 v[120:121], v[80:81], s[30:31], v[120:121] op_sel:[0,0,1] op_sel_hi:[1,0,0] neg_lo:[0,0,1] neg_hi:[0,0,1]
	v_mov_b32_e32 v124, v122
	v_mov_b32_e32 v125, v121
	v_pk_add_f32 v[114:115], v[124:125], v[114:115]
	v_pk_mul_f32 v[124:125], v[102:103], s[20:21] op_sel_hi:[1,0]
	v_pk_fma_f32 v[140:141], v[10:11], s[30:31], v[138:139] op_sel:[0,0,1] op_sel_hi:[1,0,0]
	v_pk_fma_f32 v[126:127], v[98:99], s[24:25], v[124:125] op_sel:[0,0,1] op_sel_hi:[1,0,0]
	v_pk_fma_f32 v[124:125], v[98:99], s[24:25], v[124:125] op_sel:[0,0,1] op_sel_hi:[1,0,0] neg_lo:[0,0,1] neg_hi:[0,0,1]
	v_mov_b32_e32 v128, v126
	v_mov_b32_e32 v129, v125
	v_pk_add_f32 v[114:115], v[128:129], v[114:115]
	v_pk_mul_f32 v[128:129], v[100:101], s[16:17] op_sel_hi:[1,0]
	v_pk_fma_f32 v[138:139], v[10:11], s[30:31], v[138:139] op_sel:[0,0,1] op_sel_hi:[1,0,0] neg_lo:[0,0,1] neg_hi:[0,0,1]
	v_pk_fma_f32 v[130:131], v[110:111], s[26:27], v[128:129] op_sel:[0,0,1] op_sel_hi:[1,0,0]
	v_pk_fma_f32 v[128:129], v[110:111], s[26:27], v[128:129] op_sel:[0,0,1] op_sel_hi:[1,0,0] neg_lo:[0,0,1] neg_hi:[0,0,1]
	v_mov_b32_e32 v132, v130
	v_mov_b32_e32 v133, v129
	v_pk_add_f32 v[114:115], v[132:133], v[114:115]
	v_pk_mul_f32 v[132:133], v[8:9], s[6:7] op_sel_hi:[1,0]
	v_mov_b32_e32 v142, v140
	v_pk_fma_f32 v[134:135], v[4:5], s[24:25], v[132:133] op_sel:[0,0,1] op_sel_hi:[1,0,0]
	v_pk_fma_f32 v[132:133], v[4:5], s[24:25], v[132:133] op_sel:[0,0,1] op_sel_hi:[1,0,0] neg_lo:[0,0,1] neg_hi:[0,0,1]
	v_mov_b32_e32 v136, v134
	v_mov_b32_e32 v137, v133
	v_pk_add_f32 v[136:137], v[6:7], v[136:137]
	v_mov_b32_e32 v143, v139
	v_pk_add_f32 v[136:137], v[142:143], v[136:137]
	v_pk_mul_f32 v[142:143], v[70:71], s[18:19] op_sel_hi:[1,0]
	v_pk_mul_f32 v[156:157], v[12:13], s[20:21] op_sel_hi:[1,0]
	v_pk_fma_f32 v[144:145], v[80:81], s[10:11], v[142:143] op_sel:[0,0,1] op_sel_hi:[1,0,0]
	v_pk_fma_f32 v[142:143], v[80:81], s[10:11], v[142:143] op_sel:[0,0,1] op_sel_hi:[1,0,0] neg_lo:[0,0,1] neg_hi:[0,0,1]
	v_mov_b32_e32 v146, v144
	v_mov_b32_e32 v147, v143
	v_pk_add_f32 v[136:137], v[146:147], v[136:137]
	v_pk_mul_f32 v[146:147], v[102:103], s[2:3] op_sel_hi:[1,0]
	v_pk_fma_f32 v[158:159], v[10:11], s[24:25], v[156:157] op_sel:[0,0,1] op_sel_hi:[1,0,0]
	v_pk_fma_f32 v[148:149], v[98:99], s[26:27], v[146:147] op_sel:[0,0,1] op_sel_hi:[1,0,0]
	v_pk_fma_f32 v[146:147], v[98:99], s[26:27], v[146:147] op_sel:[0,0,1] op_sel_hi:[1,0,0] neg_lo:[0,0,1] neg_hi:[0,0,1]
	v_mov_b32_e32 v150, v148
	v_mov_b32_e32 v151, v147
	v_pk_add_f32 v[136:137], v[150:151], v[136:137]
	v_pk_mul_f32 v[150:151], v[100:101], s[8:9] op_sel_hi:[1,0]
	v_pk_fma_f32 v[156:157], v[10:11], s[24:25], v[156:157] op_sel:[0,0,1] op_sel_hi:[1,0,0] neg_lo:[0,0,1] neg_hi:[0,0,1]
	v_pk_fma_f32 v[152:153], v[110:111], s[28:29], v[150:151] op_sel:[0,0,1] op_sel_hi:[1,0,0]
	v_pk_fma_f32 v[150:151], v[110:111], s[28:29], v[150:151] op_sel:[0,0,1] op_sel_hi:[1,0,0] neg_lo:[0,0,1] neg_hi:[0,0,1]
	v_mov_b32_e32 v154, v152
	v_mov_b32_e32 v155, v151
	v_pk_add_f32 v[136:137], v[154:155], v[136:137]
	ds_write2_b64 v3, v[114:115], v[136:137] offset0:22 offset1:33
	v_pk_mul_f32 v[114:115], v[8:9], s[8:9] op_sel_hi:[1,0]
	v_mov_b32_e32 v160, v158
	v_pk_fma_f32 v[136:137], v[4:5], s[28:29], v[114:115] op_sel:[0,0,1] op_sel_hi:[1,0,0]
	v_pk_fma_f32 v[114:115], v[4:5], s[28:29], v[114:115] op_sel:[0,0,1] op_sel_hi:[1,0,0] neg_lo:[0,0,1] neg_hi:[0,0,1]
	v_mov_b32_e32 v154, v136
	v_mov_b32_e32 v155, v115
	v_pk_add_f32 v[154:155], v[6:7], v[154:155]
	v_mov_b32_e32 v161, v157
	v_pk_add_f32 v[154:155], v[160:161], v[154:155]
	v_pk_mul_f32 v[160:161], v[70:71], s[2:3] op_sel_hi:[1,0]
	v_pk_mul_f32 v[8:9], v[8:9], s[12:13] op_sel_hi:[1,0]
	v_pk_fma_f32 v[162:163], v[80:81], s[26:27], v[160:161] op_sel:[0,0,1] op_sel_hi:[1,0,0]
	v_pk_fma_f32 v[160:161], v[80:81], s[26:27], v[160:161] op_sel:[0,0,1] op_sel_hi:[1,0,0] neg_lo:[0,0,1] neg_hi:[0,0,1]
	v_mov_b32_e32 v164, v162
	v_mov_b32_e32 v165, v161
	v_pk_add_f32 v[154:155], v[164:165], v[154:155]
	v_pk_mul_f32 v[164:165], v[102:103], s[12:13] op_sel_hi:[1,0]
	v_pk_mul_f32 v[70:71], v[70:71], s[8:9] op_sel_hi:[1,0]
	v_pk_fma_f32 v[166:167], v[98:99], s[30:31], v[164:165] op_sel:[0,0,1] op_sel_hi:[1,0,0]
	v_pk_fma_f32 v[164:165], v[98:99], s[30:31], v[164:165] op_sel:[0,0,1] op_sel_hi:[1,0,0] neg_lo:[0,0,1] neg_hi:[0,0,1]
	v_mov_b32_e32 v168, v166
	v_mov_b32_e32 v169, v165
	v_pk_add_f32 v[154:155], v[168:169], v[154:155]
	v_pk_mul_f32 v[168:169], v[100:101], s[18:19] op_sel_hi:[1,0]
	v_mov_b32_e32 v115, v137
	v_pk_fma_f32 v[170:171], v[110:111], s[10:11], v[168:169] op_sel:[0,0,1] op_sel_hi:[1,0,0]
	v_pk_fma_f32 v[168:169], v[110:111], s[10:11], v[168:169] op_sel:[0,0,1] op_sel_hi:[1,0,0] neg_lo:[0,0,1] neg_hi:[0,0,1]
	v_mov_b32_e32 v172, v170
	v_mov_b32_e32 v173, v169
	v_pk_add_f32 v[154:155], v[172:173], v[154:155]
	v_pk_fma_f32 v[172:173], v[4:5], s[30:31], v[8:9] op_sel:[0,0,1] op_sel_hi:[1,0,0]
	v_pk_fma_f32 v[4:5], v[4:5], s[30:31], v[8:9] op_sel:[0,0,1] op_sel_hi:[1,0,0] neg_lo:[0,0,1] neg_hi:[0,0,1]
	v_pk_mul_f32 v[8:9], v[12:13], s[16:17] op_sel_hi:[1,0]
	v_mov_b32_e32 v157, v159
	v_pk_fma_f32 v[12:13], v[10:11], s[26:27], v[8:9] op_sel:[0,0,1] op_sel_hi:[1,0,0]
	v_pk_fma_f32 v[8:9], v[10:11], s[26:27], v[8:9] op_sel:[0,0,1] op_sel_hi:[1,0,0] neg_lo:[0,0,1] neg_hi:[0,0,1]
	v_mov_b32_e32 v10, v172
	v_mov_b32_e32 v11, v5
	v_pk_add_f32 v[10:11], v[6:7], v[10:11]
	v_mov_b32_e32 v174, v12
	v_mov_b32_e32 v175, v9
	v_pk_add_f32 v[10:11], v[174:175], v[10:11]
	v_pk_fma_f32 v[174:175], v[80:81], s[28:29], v[70:71] op_sel:[0,0,1] op_sel_hi:[1,0,0]
	v_pk_fma_f32 v[70:71], v[80:81], s[28:29], v[70:71] op_sel:[0,0,1] op_sel_hi:[1,0,0] neg_lo:[0,0,1] neg_hi:[0,0,1]
	v_mov_b32_e32 v80, v174
	v_mov_b32_e32 v81, v71
	v_pk_add_f32 v[10:11], v[80:81], v[10:11]
	v_pk_mul_f32 v[80:81], v[102:103], s[18:19] op_sel_hi:[1,0]
	v_mov_b32_e32 v5, v173
	v_pk_fma_f32 v[102:103], v[98:99], s[10:11], v[80:81] op_sel:[0,0,1] op_sel_hi:[1,0,0]
	v_pk_fma_f32 v[80:81], v[98:99], s[10:11], v[80:81] op_sel:[0,0,1] op_sel_hi:[1,0,0] neg_lo:[0,0,1] neg_hi:[0,0,1]
	v_mov_b32_e32 v9, v13
	v_pk_add_f32 v[4:5], v[6:7], v[4:5]
	v_mov_b32_e32 v98, v102
	v_mov_b32_e32 v99, v81
	v_pk_add_f32 v[4:5], v[8:9], v[4:5]
	v_pk_add_f32 v[8:9], v[6:7], v[114:115]
	;; [unrolled: 1-line block ×3, first 2 shown]
	v_pk_mul_f32 v[98:99], v[100:101], s[6:7] op_sel_hi:[1,0]
	v_mov_b32_e32 v71, v175
	v_pk_add_f32 v[8:9], v[156:157], v[8:9]
	v_mov_b32_e32 v161, v163
	v_pk_fma_f32 v[100:101], v[110:111], s[24:25], v[98:99] op_sel:[0,0,1] op_sel_hi:[1,0,0]
	v_pk_fma_f32 v[98:99], v[110:111], s[24:25], v[98:99] op_sel:[0,0,1] op_sel_hi:[1,0,0] neg_lo:[0,0,1] neg_hi:[0,0,1]
	v_pk_add_f32 v[4:5], v[70:71], v[4:5]
	v_mov_b32_e32 v81, v103
	v_pk_add_f32 v[8:9], v[160:161], v[8:9]
	v_mov_b32_e32 v165, v167
	v_mov_b32_e32 v111, v99
	v_pk_add_f32 v[4:5], v[80:81], v[4:5]
	v_mov_b32_e32 v99, v101
	v_pk_add_f32 v[8:9], v[164:165], v[8:9]
	;; [unrolled: 2-line block ×3, first 2 shown]
	v_pk_add_f32 v[8:9], v[168:169], v[8:9]
	v_mov_b32_e32 v133, v135
	v_mov_b32_e32 v1, v19
	ds_write2_b64 v3, v[4:5], v[8:9] offset0:66 offset1:77
	v_mov_b32_e32 v139, v141
	v_pk_add_f32 v[4:5], v[6:7], v[132:133]
	v_mov_b32_e32 v117, v119
	v_pk_add_f32 v[0:1], v[6:7], v[0:1]
	v_pk_add_f32 v[4:5], v[138:139], v[4:5]
	v_mov_b32_e32 v143, v145
	v_pk_add_f32 v[0:1], v[116:117], v[0:1]
	v_mov_b32_e32 v121, v123
	;; [unrolled: 2-line block ×6, first 2 shown]
	v_pk_add_f32 v[4:5], v[150:151], v[4:5]
	v_pk_add_f32 v[0:1], v[128:129], v[0:1]
	v_mov_b32_e32 v15, v17
	ds_write2_b64 v3, v[4:5], v[0:1] offset0:88 offset1:99
	v_pk_add_f32 v[0:1], v[6:7], v[14:15]
	v_mov_b32_e32 v41, v43
	v_pk_add_f32 v[0:1], v[40:41], v[0:1]
	v_mov_b32_e32 v95, v97
	;; [unrolled: 2-line block ×3, first 2 shown]
	v_mov_b32_e32 v110, v100
	v_pk_add_f32 v[0:1], v[104:105], v[0:1]
	v_mov_b32_e32 v107, v113
	v_pk_add_f32 v[10:11], v[110:111], v[10:11]
	v_pk_add_f32 v[0:1], v[106:107], v[0:1]
	ds_write2_b64 v3, v[154:155], v[10:11] offset0:44 offset1:55
	ds_write_b64 v3, v[0:1] offset:880
	s_waitcnt lgkmcnt(0)
	s_barrier
	ds_read2_b64 v[0:3], v85 offset0:114 offset1:235
	ds_read2_b64 v[4:7], v83 offset0:100 offset1:221
	s_waitcnt lgkmcnt(1)
	v_pk_mul_f32 v[8:9], v[92:93], v[0:1] op_sel_hi:[0,1]
	v_pk_fma_f32 v[10:11], v[22:23], v[0:1], v[8:9] op_sel:[0,0,1] op_sel_hi:[1,1,0]
	v_pk_fma_f32 v[8:9], v[22:23], v[0:1], v[8:9] op_sel:[0,0,1] op_sel_hi:[0,1,0] neg_lo:[0,0,1] neg_hi:[0,0,1]
	v_pk_mul_f32 v[0:1], v[24:25], v[2:3] op_sel:[1,0]
	s_waitcnt lgkmcnt(0)
	v_pk_mul_f32 v[16:17], v[90:91], v[4:5] op_sel_hi:[0,1]
	v_pk_fma_f32 v[12:13], v[24:25], v[2:3], v[0:1] op_sel:[0,0,1] op_sel_hi:[1,1,0]
	v_pk_fma_f32 v[14:15], v[24:25], v[2:3], v[0:1] op_sel:[0,0,1] op_sel_hi:[0,1,0] neg_lo:[0,0,1] neg_hi:[0,0,1]
	ds_read2_b64 v[0:3], v79 offset0:86 offset1:207
	v_pk_fma_f32 v[18:19], v[26:27], v[4:5], v[16:17] op_sel:[0,0,1] op_sel_hi:[1,1,0]
	v_pk_fma_f32 v[16:17], v[26:27], v[4:5], v[16:17] op_sel:[0,0,1] op_sel_hi:[0,1,0] neg_lo:[0,0,1] neg_hi:[0,0,1]
	v_pk_mul_f32 v[4:5], v[28:29], v[6:7] op_sel:[1,0]
	v_mov_b32_e32 v11, v9
	v_pk_fma_f32 v[22:23], v[28:29], v[6:7], v[4:5] op_sel:[0,0,1] op_sel_hi:[1,1,0]
	v_pk_fma_f32 v[24:25], v[28:29], v[6:7], v[4:5] op_sel:[0,0,1] op_sel_hi:[0,1,0] neg_lo:[0,0,1] neg_hi:[0,0,1]
	ds_read2_b64 v[4:7], v77 offset0:72 offset1:193
	s_waitcnt lgkmcnt(1)
	v_pk_mul_f32 v[26:27], v[88:89], v[0:1] op_sel_hi:[0,1]
	v_pk_fma_f32 v[28:29], v[30:31], v[0:1], v[26:27] op_sel:[0,0,1] op_sel_hi:[1,1,0]
	v_pk_fma_f32 v[0:1], v[30:31], v[0:1], v[26:27] op_sel:[0,0,1] op_sel_hi:[0,1,0] neg_lo:[0,0,1] neg_hi:[0,0,1]
	v_pk_mul_f32 v[26:27], v[36:37], v[2:3] op_sel:[1,0]
	ds_read_b64 v[8:9], v73 offset:9680
	v_pk_fma_f32 v[30:31], v[36:37], v[2:3], v[26:27] op_sel:[0,0,1] op_sel_hi:[1,1,0]
	v_pk_fma_f32 v[2:3], v[36:37], v[2:3], v[26:27] op_sel:[0,0,1] op_sel_hi:[0,1,0] neg_lo:[0,0,1] neg_hi:[0,0,1]
	s_waitcnt lgkmcnt(1)
	v_pk_mul_f32 v[26:27], v[84:85], v[4:5] op_sel_hi:[0,1]
	v_pk_fma_f32 v[36:37], v[38:39], v[4:5], v[26:27] op_sel:[0,0,1] op_sel_hi:[1,1,0]
	v_pk_fma_f32 v[4:5], v[38:39], v[4:5], v[26:27] op_sel:[0,0,1] op_sel_hi:[0,1,0] neg_lo:[0,0,1] neg_hi:[0,0,1]
	v_mov_b32_e32 v29, v1
	v_pk_mul_f32 v[0:1], v[32:33], v[6:7] op_sel:[1,0]
	v_mov_b32_e32 v31, v3
	v_mov_b32_e32 v37, v5
	v_pk_fma_f32 v[4:5], v[32:33], v[6:7], v[0:1] op_sel:[0,0,1] op_sel_hi:[1,1,0]
	v_pk_fma_f32 v[6:7], v[32:33], v[6:7], v[0:1] op_sel:[0,0,1] op_sel_hi:[0,1,0] neg_lo:[0,0,1] neg_hi:[0,0,1]
	ds_read2_b64 v[0:3], v73 offset1:121
	v_mov_b32_e32 v5, v7
	s_waitcnt lgkmcnt(1)
	v_pk_mul_f32 v[6:7], v[86:87], v[8:9] op_sel_hi:[0,1]
	v_mov_b32_e32 v13, v15
	v_pk_fma_f32 v[14:15], v[34:35], v[8:9], v[6:7] op_sel:[0,0,1] op_sel_hi:[1,1,0]
	v_pk_fma_f32 v[6:7], v[34:35], v[8:9], v[6:7] op_sel:[0,0,1] op_sel_hi:[0,1,0] neg_lo:[0,0,1] neg_hi:[0,0,1]
	v_mov_b32_e32 v15, v7
	s_waitcnt lgkmcnt(0)
	v_pk_mul_f32 v[6:7], v[20:21], v[2:3] op_sel:[1,0]
	v_mov_b32_e32 v19, v17
	v_pk_fma_f32 v[8:9], v[20:21], v[2:3], v[6:7] op_sel:[0,0,1] op_sel_hi:[1,1,0]
	v_pk_fma_f32 v[2:3], v[20:21], v[2:3], v[6:7] op_sel:[0,0,1] op_sel_hi:[0,1,0] neg_lo:[0,0,1] neg_hi:[0,0,1]
	v_mov_b32_e32 v9, v3
	v_pk_add_f32 v[2:3], v[0:1], v[8:9]
	v_mov_b32_e32 v23, v25
	v_pk_add_f32 v[2:3], v[2:3], v[10:11]
	v_pk_add_f32 v[6:7], v[8:9], v[14:15]
	;; [unrolled: 1-line block ×3, first 2 shown]
	v_pk_add_f32 v[8:9], v[8:9], v[14:15] neg_lo:[0,1] neg_hi:[0,1]
	v_pk_add_f32 v[2:3], v[2:3], v[18:19]
	v_pk_add_f32 v[24:25], v[10:11], v[4:5]
	;; [unrolled: 1-line block ×3, first 2 shown]
	s_nop 0
	v_pk_add_f32 v[2:3], v[2:3], v[28:29]
	s_nop 0
	v_pk_add_f32 v[2:3], v[2:3], v[30:31]
	;; [unrolled: 2-line block ×4, first 2 shown]
	v_pk_add_f32 v[4:5], v[10:11], v[4:5] neg_lo:[0,1] neg_hi:[0,1]
	v_pk_add_f32 v[2:3], v[2:3], v[14:15]
	v_pk_mul_f32 v[14:15], v[8:9], s[2:3] op_sel_hi:[1,0]
	v_pk_mul_f32 v[10:11], v[4:5], s[14:15] op_sel_hi:[1,0]
	v_pk_fma_f32 v[16:17], v[6:7], s[26:27], v[14:15] op_sel:[0,0,1] op_sel_hi:[1,0,0]
	v_pk_fma_f32 v[14:15], v[6:7], s[26:27], v[14:15] op_sel:[0,0,1] op_sel_hi:[1,0,0] neg_lo:[0,0,1] neg_hi:[0,0,1]
	v_mov_b32_e32 v20, v16
	v_mov_b32_e32 v21, v15
	v_pk_fma_f32 v[26:27], v[24:25], s[10:11], v[10:11] op_sel:[0,0,1] op_sel_hi:[1,0,0]
	v_pk_fma_f32 v[10:11], v[24:25], s[10:11], v[10:11] op_sel:[0,0,1] op_sel_hi:[1,0,0] neg_lo:[0,0,1] neg_hi:[0,0,1]
	v_pk_add_f32 v[20:21], v[0:1], v[20:21]
	v_mov_b32_e32 v32, v26
	v_mov_b32_e32 v33, v11
	v_pk_add_f32 v[20:21], v[32:33], v[20:21]
	v_pk_add_f32 v[32:33], v[12:13], v[36:37]
	v_pk_add_f32 v[12:13], v[12:13], v[36:37] neg_lo:[0,1] neg_hi:[0,1]
	v_pk_mul_f32 v[86:87], v[4:5], s[8:9] op_sel_hi:[1,0]
	v_pk_mul_f32 v[34:35], v[12:13], s[6:7] op_sel_hi:[1,0]
	v_pk_fma_f32 v[88:89], v[24:25], s[28:29], v[86:87] op_sel:[0,0,1] op_sel_hi:[1,0,0]
	v_pk_fma_f32 v[36:37], v[32:33], s[24:25], v[34:35] op_sel:[0,0,1] op_sel_hi:[1,0,0]
	v_pk_fma_f32 v[34:35], v[32:33], s[24:25], v[34:35] op_sel:[0,0,1] op_sel_hi:[1,0,0] neg_lo:[0,0,1] neg_hi:[0,0,1]
	v_mov_b32_e32 v38, v36
	v_mov_b32_e32 v39, v35
	v_pk_add_f32 v[20:21], v[38:39], v[20:21]
	v_pk_add_f32 v[38:39], v[18:19], v[30:31]
	v_pk_add_f32 v[18:19], v[18:19], v[30:31] neg_lo:[0,1] neg_hi:[0,1]
	v_pk_fma_f32 v[86:87], v[24:25], s[28:29], v[86:87] op_sel:[0,0,1] op_sel_hi:[1,0,0] neg_lo:[0,0,1] neg_hi:[0,0,1]
	v_pk_mul_f32 v[30:31], v[18:19], s[8:9] op_sel_hi:[1,0]
	v_mov_b32_e32 v90, v88
	v_pk_fma_f32 v[40:41], v[38:39], s[28:29], v[30:31] op_sel:[0,0,1] op_sel_hi:[1,0,0]
	v_pk_fma_f32 v[30:31], v[38:39], s[28:29], v[30:31] op_sel:[0,0,1] op_sel_hi:[1,0,0] neg_lo:[0,0,1] neg_hi:[0,0,1]
	v_mov_b32_e32 v42, v40
	v_mov_b32_e32 v43, v31
	v_pk_add_f32 v[20:21], v[42:43], v[20:21]
	v_pk_add_f32 v[42:43], v[22:23], v[28:29]
	v_pk_add_f32 v[22:23], v[22:23], v[28:29] neg_lo:[0,1] neg_hi:[0,1]
	v_mov_b32_e32 v91, v87
	v_pk_mul_f32 v[28:29], v[22:23], s[12:13] op_sel_hi:[1,0]
	v_pk_mul_f32 v[108:109], v[4:5], s[22:23] op_sel_hi:[1,0]
	v_pk_fma_f32 v[70:71], v[42:43], s[30:31], v[28:29] op_sel:[0,0,1] op_sel_hi:[1,0,0]
	v_pk_fma_f32 v[28:29], v[42:43], s[30:31], v[28:29] op_sel:[0,0,1] op_sel_hi:[1,0,0] neg_lo:[0,0,1] neg_hi:[0,0,1]
	v_mov_b32_e32 v80, v70
	v_mov_b32_e32 v81, v29
	v_pk_add_f32 v[20:21], v[80:81], v[20:21]
	ds_write2_b64 v73, v[2:3], v[20:21] offset1:121
	v_pk_mul_f32 v[2:3], v[8:9], s[14:15] op_sel_hi:[1,0]
	v_pk_fma_f32 v[110:111], v[24:25], s[30:31], v[108:109] op_sel:[0,0,1] op_sel_hi:[1,0,0]
	v_pk_fma_f32 v[20:21], v[6:7], s[10:11], v[2:3] op_sel:[0,0,1] op_sel_hi:[1,0,0]
	v_pk_fma_f32 v[2:3], v[6:7], s[10:11], v[2:3] op_sel:[0,0,1] op_sel_hi:[1,0,0] neg_lo:[0,0,1] neg_hi:[0,0,1]
	v_mov_b32_e32 v80, v20
	v_mov_b32_e32 v81, v3
	v_pk_add_f32 v[80:81], v[0:1], v[80:81]
	v_pk_fma_f32 v[108:109], v[24:25], s[30:31], v[108:109] op_sel:[0,0,1] op_sel_hi:[1,0,0] neg_lo:[0,0,1] neg_hi:[0,0,1]
	v_pk_add_f32 v[80:81], v[90:91], v[80:81]
	v_pk_mul_f32 v[90:91], v[12:13], s[22:23] op_sel_hi:[1,0]
	v_mov_b32_e32 v112, v110
	v_pk_fma_f32 v[92:93], v[32:33], s[30:31], v[90:91] op_sel:[0,0,1] op_sel_hi:[1,0,0]
	v_pk_fma_f32 v[90:91], v[32:33], s[30:31], v[90:91] op_sel:[0,0,1] op_sel_hi:[1,0,0] neg_lo:[0,0,1] neg_hi:[0,0,1]
	v_mov_b32_e32 v94, v92
	v_mov_b32_e32 v95, v91
	v_pk_add_f32 v[80:81], v[94:95], v[80:81]
	v_pk_mul_f32 v[94:95], v[18:19], s[20:21] op_sel_hi:[1,0]
	v_mov_b32_e32 v113, v109
	v_pk_fma_f32 v[96:97], v[38:39], s[24:25], v[94:95] op_sel:[0,0,1] op_sel_hi:[1,0,0]
	v_pk_fma_f32 v[94:95], v[38:39], s[24:25], v[94:95] op_sel:[0,0,1] op_sel_hi:[1,0,0] neg_lo:[0,0,1] neg_hi:[0,0,1]
	v_mov_b32_e32 v98, v96
	v_mov_b32_e32 v99, v95
	v_pk_add_f32 v[80:81], v[98:99], v[80:81]
	v_pk_mul_f32 v[98:99], v[22:23], s[16:17] op_sel_hi:[1,0]
	v_pk_mul_f32 v[126:127], v[4:5], s[20:21] op_sel_hi:[1,0]
	v_pk_fma_f32 v[100:101], v[42:43], s[26:27], v[98:99] op_sel:[0,0,1] op_sel_hi:[1,0,0]
	v_pk_fma_f32 v[98:99], v[42:43], s[26:27], v[98:99] op_sel:[0,0,1] op_sel_hi:[1,0,0] neg_lo:[0,0,1] neg_hi:[0,0,1]
	v_mov_b32_e32 v102, v100
	v_mov_b32_e32 v103, v99
	v_pk_add_f32 v[80:81], v[102:103], v[80:81]
	v_pk_mul_f32 v[102:103], v[8:9], s[6:7] op_sel_hi:[1,0]
	v_pk_fma_f32 v[128:129], v[24:25], s[24:25], v[126:127] op_sel:[0,0,1] op_sel_hi:[1,0,0]
	v_pk_fma_f32 v[104:105], v[6:7], s[24:25], v[102:103] op_sel:[0,0,1] op_sel_hi:[1,0,0]
	v_pk_fma_f32 v[102:103], v[6:7], s[24:25], v[102:103] op_sel:[0,0,1] op_sel_hi:[1,0,0] neg_lo:[0,0,1] neg_hi:[0,0,1]
	v_mov_b32_e32 v106, v104
	v_mov_b32_e32 v107, v103
	v_pk_add_f32 v[106:107], v[0:1], v[106:107]
	v_pk_fma_f32 v[126:127], v[24:25], s[24:25], v[126:127] op_sel:[0,0,1] op_sel_hi:[1,0,0] neg_lo:[0,0,1] neg_hi:[0,0,1]
	v_pk_add_f32 v[106:107], v[112:113], v[106:107]
	v_pk_mul_f32 v[112:113], v[12:13], s[18:19] op_sel_hi:[1,0]
	v_mov_b32_e32 v130, v128
	v_pk_fma_f32 v[114:115], v[32:33], s[10:11], v[112:113] op_sel:[0,0,1] op_sel_hi:[1,0,0]
	v_pk_fma_f32 v[112:113], v[32:33], s[10:11], v[112:113] op_sel:[0,0,1] op_sel_hi:[1,0,0] neg_lo:[0,0,1] neg_hi:[0,0,1]
	v_mov_b32_e32 v116, v114
	v_mov_b32_e32 v117, v113
	v_pk_add_f32 v[106:107], v[116:117], v[106:107]
	v_pk_mul_f32 v[116:117], v[18:19], s[2:3] op_sel_hi:[1,0]
	v_mov_b32_e32 v131, v127
	v_pk_fma_f32 v[118:119], v[38:39], s[26:27], v[116:117] op_sel:[0,0,1] op_sel_hi:[1,0,0]
	v_pk_fma_f32 v[116:117], v[38:39], s[26:27], v[116:117] op_sel:[0,0,1] op_sel_hi:[1,0,0] neg_lo:[0,0,1] neg_hi:[0,0,1]
	v_mov_b32_e32 v120, v118
	v_mov_b32_e32 v121, v117
	v_pk_add_f32 v[106:107], v[120:121], v[106:107]
	v_pk_mul_f32 v[120:121], v[22:23], s[8:9] op_sel_hi:[1,0]
	v_pk_mul_f32 v[4:5], v[4:5], s[16:17] op_sel_hi:[1,0]
	v_pk_fma_f32 v[122:123], v[42:43], s[28:29], v[120:121] op_sel:[0,0,1] op_sel_hi:[1,0,0]
	v_pk_fma_f32 v[120:121], v[42:43], s[28:29], v[120:121] op_sel:[0,0,1] op_sel_hi:[1,0,0] neg_lo:[0,0,1] neg_hi:[0,0,1]
	v_mov_b32_e32 v124, v122
	v_mov_b32_e32 v125, v121
	v_pk_add_f32 v[106:107], v[124:125], v[106:107]
	ds_write2_b64 v85, v[80:81], v[106:107] offset0:114 offset1:235
	v_pk_mul_f32 v[80:81], v[8:9], s[8:9] op_sel_hi:[1,0]
	v_pk_mul_f32 v[8:9], v[8:9], s[12:13] op_sel_hi:[1,0]
	v_pk_fma_f32 v[106:107], v[6:7], s[28:29], v[80:81] op_sel:[0,0,1] op_sel_hi:[1,0,0]
	v_pk_fma_f32 v[80:81], v[6:7], s[28:29], v[80:81] op_sel:[0,0,1] op_sel_hi:[1,0,0] neg_lo:[0,0,1] neg_hi:[0,0,1]
	v_mov_b32_e32 v124, v106
	v_mov_b32_e32 v125, v81
	v_pk_add_f32 v[124:125], v[0:1], v[124:125]
	v_mov_b32_e32 v81, v107
	v_pk_add_f32 v[124:125], v[130:131], v[124:125]
	v_pk_mul_f32 v[130:131], v[12:13], s[2:3] op_sel_hi:[1,0]
	v_pk_mul_f32 v[12:13], v[12:13], s[8:9] op_sel_hi:[1,0]
	v_pk_fma_f32 v[132:133], v[32:33], s[26:27], v[130:131] op_sel:[0,0,1] op_sel_hi:[1,0,0]
	v_pk_fma_f32 v[130:131], v[32:33], s[26:27], v[130:131] op_sel:[0,0,1] op_sel_hi:[1,0,0] neg_lo:[0,0,1] neg_hi:[0,0,1]
	v_mov_b32_e32 v134, v132
	v_mov_b32_e32 v135, v131
	v_pk_add_f32 v[124:125], v[134:135], v[124:125]
	v_pk_mul_f32 v[134:135], v[18:19], s[12:13] op_sel_hi:[1,0]
	v_pk_mul_f32 v[18:19], v[18:19], s[18:19] op_sel_hi:[1,0]
	v_pk_fma_f32 v[136:137], v[38:39], s[30:31], v[134:135] op_sel:[0,0,1] op_sel_hi:[1,0,0]
	v_pk_fma_f32 v[134:135], v[38:39], s[30:31], v[134:135] op_sel:[0,0,1] op_sel_hi:[1,0,0] neg_lo:[0,0,1] neg_hi:[0,0,1]
	v_mov_b32_e32 v138, v136
	v_mov_b32_e32 v139, v135
	v_pk_add_f32 v[124:125], v[138:139], v[124:125]
	v_pk_mul_f32 v[138:139], v[22:23], s[18:19] op_sel_hi:[1,0]
	v_mov_b32_e32 v127, v129
	v_pk_fma_f32 v[140:141], v[42:43], s[10:11], v[138:139] op_sel:[0,0,1] op_sel_hi:[1,0,0]
	v_pk_fma_f32 v[138:139], v[42:43], s[10:11], v[138:139] op_sel:[0,0,1] op_sel_hi:[1,0,0] neg_lo:[0,0,1] neg_hi:[0,0,1]
	v_mov_b32_e32 v142, v140
	v_mov_b32_e32 v143, v139
	v_pk_add_f32 v[124:125], v[142:143], v[124:125]
	v_pk_fma_f32 v[142:143], v[6:7], s[30:31], v[8:9] op_sel:[0,0,1] op_sel_hi:[1,0,0]
	v_pk_fma_f32 v[6:7], v[6:7], s[30:31], v[8:9] op_sel:[0,0,1] op_sel_hi:[1,0,0] neg_lo:[0,0,1] neg_hi:[0,0,1]
	v_pk_fma_f32 v[8:9], v[24:25], s[26:27], v[4:5] op_sel:[0,0,1] op_sel_hi:[1,0,0]
	v_pk_fma_f32 v[4:5], v[24:25], s[26:27], v[4:5] op_sel:[0,0,1] op_sel_hi:[1,0,0] neg_lo:[0,0,1] neg_hi:[0,0,1]
	v_mov_b32_e32 v24, v142
	v_mov_b32_e32 v25, v7
	v_pk_add_f32 v[24:25], v[0:1], v[24:25]
	v_mov_b32_e32 v144, v8
	v_mov_b32_e32 v145, v5
	v_pk_add_f32 v[24:25], v[144:145], v[24:25]
	v_pk_fma_f32 v[144:145], v[32:33], s[28:29], v[12:13] op_sel:[0,0,1] op_sel_hi:[1,0,0]
	v_pk_fma_f32 v[12:13], v[32:33], s[28:29], v[12:13] op_sel:[0,0,1] op_sel_hi:[1,0,0] neg_lo:[0,0,1] neg_hi:[0,0,1]
	v_mov_b32_e32 v7, v143
	v_mov_b32_e32 v32, v144
	;; [unrolled: 1-line block ×4, first 2 shown]
	v_pk_add_f32 v[6:7], v[0:1], v[6:7]
	v_pk_add_f32 v[24:25], v[32:33], v[24:25]
	v_pk_fma_f32 v[32:33], v[38:39], s[10:11], v[18:19] op_sel:[0,0,1] op_sel_hi:[1,0,0]
	v_pk_fma_f32 v[18:19], v[38:39], s[10:11], v[18:19] op_sel:[0,0,1] op_sel_hi:[1,0,0] neg_lo:[0,0,1] neg_hi:[0,0,1]
	v_pk_add_f32 v[4:5], v[4:5], v[6:7]
	v_pk_add_f32 v[6:7], v[0:1], v[80:81]
	v_mov_b32_e32 v38, v32
	v_mov_b32_e32 v39, v19
	v_pk_mul_f32 v[22:23], v[22:23], s[6:7] op_sel_hi:[1,0]
	v_mov_b32_e32 v13, v145
	v_pk_add_f32 v[6:7], v[126:127], v[6:7]
	v_mov_b32_e32 v131, v133
	v_pk_add_f32 v[24:25], v[38:39], v[24:25]
	v_pk_fma_f32 v[38:39], v[42:43], s[24:25], v[22:23] op_sel:[0,0,1] op_sel_hi:[1,0,0]
	v_pk_fma_f32 v[22:23], v[42:43], s[24:25], v[22:23] op_sel:[0,0,1] op_sel_hi:[1,0,0] neg_lo:[0,0,1] neg_hi:[0,0,1]
	v_pk_add_f32 v[4:5], v[12:13], v[4:5]
	v_mov_b32_e32 v19, v33
	v_pk_add_f32 v[6:7], v[130:131], v[6:7]
	v_mov_b32_e32 v135, v137
	v_mov_b32_e32 v43, v23
	v_pk_add_f32 v[4:5], v[18:19], v[4:5]
	v_mov_b32_e32 v23, v39
	v_pk_add_f32 v[6:7], v[134:135], v[6:7]
	;; [unrolled: 2-line block ×3, first 2 shown]
	v_pk_add_f32 v[6:7], v[138:139], v[6:7]
	v_mov_b32_e32 v103, v105
	v_mov_b32_e32 v3, v21
	;; [unrolled: 1-line block ×3, first 2 shown]
	ds_write2_b64 v79, v[4:5], v[6:7] offset0:86 offset1:207
	v_mov_b32_e32 v109, v111
	v_pk_add_f32 v[4:5], v[0:1], v[102:103]
	v_mov_b32_e32 v87, v89
	v_pk_add_f32 v[2:3], v[0:1], v[2:3]
	v_pk_add_f32 v[0:1], v[0:1], v[14:15]
	v_mov_b32_e32 v11, v27
	v_pk_add_f32 v[4:5], v[108:109], v[4:5]
	v_mov_b32_e32 v113, v115
	;; [unrolled: 2-line block ×7, first 2 shown]
	v_mov_b32_e32 v42, v38
	v_pk_add_f32 v[4:5], v[116:117], v[4:5]
	v_mov_b32_e32 v121, v123
	v_pk_add_f32 v[2:3], v[94:95], v[2:3]
	;; [unrolled: 2-line block ×4, first 2 shown]
	v_pk_add_f32 v[4:5], v[120:121], v[4:5]
	v_pk_add_f32 v[2:3], v[98:99], v[2:3]
	;; [unrolled: 1-line block ×3, first 2 shown]
	ds_write2_b64 v83, v[124:125], v[24:25] offset0:100 offset1:221
	ds_write2_b64 v77, v[4:5], v[2:3] offset0:72 offset1:193
	ds_write_b64 v73, v[0:1] offset:9680
	s_waitcnt lgkmcnt(0)
	s_barrier
	ds_read2_b64 v[0:3], v73 offset1:121
	v_mov_b32_e32 v4, s0
	v_mov_b32_e32 v5, s1
	s_mov_b32 s0, 0x3fdb1246
	s_mov_b32 s1, 0x3f489e7c
	s_waitcnt lgkmcnt(0)
	v_mul_f32_e32 v6, v69, v1
	v_fmac_f32_e32 v6, v68, v0
	v_mul_f32_e32 v0, v69, v0
	v_fma_f32 v0, v68, v1, -v0
	v_cvt_f64_f32_e32 v[6:7], v6
	v_cvt_f64_f32_e32 v[0:1], v0
	v_mul_f64 v[6:7], v[6:7], s[0:1]
	v_mul_f64 v[0:1], v[0:1], s[0:1]
	v_cvt_f32_f64_e32 v6, v[6:7]
	v_cvt_f32_f64_e32 v7, v[0:1]
	v_mad_u64_u32 v[0:1], s[2:3], s4, v75, 0
	v_mov_b32_e32 v8, v1
	v_mad_u64_u32 v[8:9], s[2:3], s5, v75, v[8:9]
	v_mov_b32_e32 v1, v8
	v_lshl_add_u64 v[4:5], v[50:51], 3, v[4:5]
	v_lshl_add_u64 v[4:5], v[0:1], 3, v[4:5]
	v_mul_f32_e32 v0, v67, v3
	v_fmac_f32_e32 v0, v66, v2
	v_cvt_f64_f32_e32 v[0:1], v0
	v_mul_f64 v[0:1], v[0:1], s[0:1]
	global_store_dwordx2 v[4:5], v[6:7], off
	v_cvt_f32_f64_e32 v6, v[0:1]
	v_mul_f32_e32 v0, v67, v2
	v_fma_f32 v0, v66, v3, -v0
	v_cvt_f64_f32_e32 v[0:1], v0
	v_mul_f64 v[0:1], v[0:1], s[0:1]
	v_cvt_f32_f64_e32 v7, v[0:1]
	ds_read2_b64 v[0:3], v85 offset0:114 offset1:235
	v_mad_u64_u32 v[4:5], s[2:3], s4, v65, v[4:5]
	s_mulk_i32 s5, 0x3c8
	v_add_u32_e32 v5, s5, v5
	global_store_dwordx2 v[4:5], v[6:7], off
	s_waitcnt lgkmcnt(0)
	v_mul_f32_e32 v6, v61, v1
	v_fmac_f32_e32 v6, v60, v0
	v_mul_f32_e32 v0, v61, v0
	v_fma_f32 v0, v60, v1, -v0
	v_cvt_f64_f32_e32 v[6:7], v6
	v_cvt_f64_f32_e32 v[0:1], v0
	v_mul_f64 v[6:7], v[6:7], s[0:1]
	v_mul_f64 v[0:1], v[0:1], s[0:1]
	v_cvt_f32_f64_e32 v6, v[6:7]
	v_cvt_f32_f64_e32 v7, v[0:1]
	v_mul_f32_e32 v0, v55, v3
	v_fmac_f32_e32 v0, v54, v2
	v_mad_u64_u32 v[4:5], s[2:3], s4, v65, v[4:5]
	v_cvt_f64_f32_e32 v[0:1], v0
	v_add_u32_e32 v5, s5, v5
	v_mul_f64 v[0:1], v[0:1], s[0:1]
	global_store_dwordx2 v[4:5], v[6:7], off
	v_cvt_f32_f64_e32 v6, v[0:1]
	v_mul_f32_e32 v0, v55, v2
	v_fma_f32 v0, v54, v3, -v0
	v_cvt_f64_f32_e32 v[0:1], v0
	v_mul_f64 v[0:1], v[0:1], s[0:1]
	v_cvt_f32_f64_e32 v7, v[0:1]
	ds_read2_b64 v[0:3], v83 offset0:100 offset1:221
	v_mad_u64_u32 v[4:5], s[2:3], s4, v65, v[4:5]
	v_add_u32_e32 v5, s5, v5
	global_store_dwordx2 v[4:5], v[6:7], off
	s_waitcnt lgkmcnt(0)
	v_mul_f32_e32 v6, v53, v1
	v_fmac_f32_e32 v6, v52, v0
	v_mul_f32_e32 v0, v53, v0
	v_fma_f32 v0, v52, v1, -v0
	v_cvt_f64_f32_e32 v[6:7], v6
	v_cvt_f64_f32_e32 v[0:1], v0
	v_mul_f64 v[6:7], v[6:7], s[0:1]
	v_mul_f64 v[0:1], v[0:1], s[0:1]
	v_cvt_f32_f64_e32 v6, v[6:7]
	v_cvt_f32_f64_e32 v7, v[0:1]
	v_mul_f32_e32 v0, v59, v3
	v_fmac_f32_e32 v0, v58, v2
	v_mad_u64_u32 v[4:5], s[2:3], s4, v65, v[4:5]
	v_cvt_f64_f32_e32 v[0:1], v0
	v_add_u32_e32 v5, s5, v5
	v_mul_f64 v[0:1], v[0:1], s[0:1]
	global_store_dwordx2 v[4:5], v[6:7], off
	v_cvt_f32_f64_e32 v6, v[0:1]
	v_mul_f32_e32 v0, v59, v2
	v_fma_f32 v0, v58, v3, -v0
	v_cvt_f64_f32_e32 v[0:1], v0
	v_mul_f64 v[0:1], v[0:1], s[0:1]
	v_cvt_f32_f64_e32 v7, v[0:1]
	ds_read2_b64 v[0:3], v79 offset0:86 offset1:207
	v_mad_u64_u32 v[4:5], s[2:3], s4, v65, v[4:5]
	;; [unrolled: 28-line block ×3, first 2 shown]
	v_add_u32_e32 v5, s5, v5
	global_store_dwordx2 v[4:5], v[6:7], off
	s_waitcnt lgkmcnt(0)
	v_mul_f32_e32 v6, v47, v1
	v_fmac_f32_e32 v6, v46, v0
	v_mul_f32_e32 v0, v47, v0
	v_fma_f32 v0, v46, v1, -v0
	v_cvt_f64_f32_e32 v[6:7], v6
	v_cvt_f64_f32_e32 v[0:1], v0
	v_mul_f64 v[6:7], v[6:7], s[0:1]
	v_mul_f64 v[0:1], v[0:1], s[0:1]
	v_cvt_f32_f64_e32 v6, v[6:7]
	v_cvt_f32_f64_e32 v7, v[0:1]
	v_mad_u64_u32 v[0:1], s[2:3], s4, v65, v[4:5]
	v_mul_f32_e32 v4, v49, v3
	v_fmac_f32_e32 v4, v48, v2
	v_mul_f32_e32 v2, v49, v2
	v_fma_f32 v2, v48, v3, -v2
	v_cvt_f64_f32_e32 v[4:5], v4
	v_cvt_f64_f32_e32 v[2:3], v2
	v_mul_f64 v[4:5], v[4:5], s[0:1]
	v_mul_f64 v[2:3], v[2:3], s[0:1]
	v_cvt_f32_f64_e32 v4, v[4:5]
	v_cvt_f32_f64_e32 v5, v[2:3]
	ds_read_b64 v[2:3], v73 offset:9680
	v_add_u32_e32 v1, s5, v1
	global_store_dwordx2 v[0:1], v[6:7], off
	v_mad_u64_u32 v[0:1], s[2:3], s4, v65, v[0:1]
	v_add_u32_e32 v1, s5, v1
	global_store_dwordx2 v[0:1], v[4:5], off
	s_waitcnt lgkmcnt(0)
	v_mul_f32_e32 v4, v45, v3
	v_fmac_f32_e32 v4, v44, v2
	v_mul_f32_e32 v2, v45, v2
	v_fma_f32 v2, v44, v3, -v2
	v_cvt_f64_f32_e32 v[4:5], v4
	v_cvt_f64_f32_e32 v[2:3], v2
	v_mul_f64 v[4:5], v[4:5], s[0:1]
	v_mul_f64 v[2:3], v[2:3], s[0:1]
	v_mad_u64_u32 v[0:1], s[0:1], s4, v65, v[0:1]
	v_cvt_f32_f64_e32 v4, v[4:5]
	v_cvt_f32_f64_e32 v5, v[2:3]
	v_add_u32_e32 v1, s5, v1
	global_store_dwordx2 v[0:1], v[4:5], off
.LBB0_2:
	s_endpgm
	.section	.rodata,"a",@progbits
	.p2align	6, 0x0
	.amdhsa_kernel bluestein_single_back_len1331_dim1_sp_op_CI_CI
		.amdhsa_group_segment_fixed_size 21296
		.amdhsa_private_segment_fixed_size 0
		.amdhsa_kernarg_size 104
		.amdhsa_user_sgpr_count 2
		.amdhsa_user_sgpr_dispatch_ptr 0
		.amdhsa_user_sgpr_queue_ptr 0
		.amdhsa_user_sgpr_kernarg_segment_ptr 1
		.amdhsa_user_sgpr_dispatch_id 0
		.amdhsa_user_sgpr_kernarg_preload_length 0
		.amdhsa_user_sgpr_kernarg_preload_offset 0
		.amdhsa_user_sgpr_private_segment_size 0
		.amdhsa_uses_dynamic_stack 0
		.amdhsa_enable_private_segment 0
		.amdhsa_system_sgpr_workgroup_id_x 1
		.amdhsa_system_sgpr_workgroup_id_y 0
		.amdhsa_system_sgpr_workgroup_id_z 0
		.amdhsa_system_sgpr_workgroup_info 0
		.amdhsa_system_vgpr_workitem_id 0
		.amdhsa_next_free_vgpr 208
		.amdhsa_next_free_sgpr 44
		.amdhsa_accum_offset 208
		.amdhsa_reserve_vcc 1
		.amdhsa_float_round_mode_32 0
		.amdhsa_float_round_mode_16_64 0
		.amdhsa_float_denorm_mode_32 3
		.amdhsa_float_denorm_mode_16_64 3
		.amdhsa_dx10_clamp 1
		.amdhsa_ieee_mode 1
		.amdhsa_fp16_overflow 0
		.amdhsa_tg_split 0
		.amdhsa_exception_fp_ieee_invalid_op 0
		.amdhsa_exception_fp_denorm_src 0
		.amdhsa_exception_fp_ieee_div_zero 0
		.amdhsa_exception_fp_ieee_overflow 0
		.amdhsa_exception_fp_ieee_underflow 0
		.amdhsa_exception_fp_ieee_inexact 0
		.amdhsa_exception_int_div_zero 0
	.end_amdhsa_kernel
	.text
.Lfunc_end0:
	.size	bluestein_single_back_len1331_dim1_sp_op_CI_CI, .Lfunc_end0-bluestein_single_back_len1331_dim1_sp_op_CI_CI
                                        ; -- End function
	.section	.AMDGPU.csdata,"",@progbits
; Kernel info:
; codeLenInByte = 14136
; NumSgprs: 50
; NumVgprs: 208
; NumAgprs: 0
; TotalNumVgprs: 208
; ScratchSize: 0
; MemoryBound: 0
; FloatMode: 240
; IeeeMode: 1
; LDSByteSize: 21296 bytes/workgroup (compile time only)
; SGPRBlocks: 6
; VGPRBlocks: 25
; NumSGPRsForWavesPerEU: 50
; NumVGPRsForWavesPerEU: 208
; AccumOffset: 208
; Occupancy: 2
; WaveLimiterHint : 1
; COMPUTE_PGM_RSRC2:SCRATCH_EN: 0
; COMPUTE_PGM_RSRC2:USER_SGPR: 2
; COMPUTE_PGM_RSRC2:TRAP_HANDLER: 0
; COMPUTE_PGM_RSRC2:TGID_X_EN: 1
; COMPUTE_PGM_RSRC2:TGID_Y_EN: 0
; COMPUTE_PGM_RSRC2:TGID_Z_EN: 0
; COMPUTE_PGM_RSRC2:TIDIG_COMP_CNT: 0
; COMPUTE_PGM_RSRC3_GFX90A:ACCUM_OFFSET: 51
; COMPUTE_PGM_RSRC3_GFX90A:TG_SPLIT: 0
	.text
	.p2alignl 6, 3212836864
	.fill 256, 4, 3212836864
	.type	__hip_cuid_e31385bc809c405,@object ; @__hip_cuid_e31385bc809c405
	.section	.bss,"aw",@nobits
	.globl	__hip_cuid_e31385bc809c405
__hip_cuid_e31385bc809c405:
	.byte	0                               ; 0x0
	.size	__hip_cuid_e31385bc809c405, 1

	.ident	"AMD clang version 19.0.0git (https://github.com/RadeonOpenCompute/llvm-project roc-6.4.0 25133 c7fe45cf4b819c5991fe208aaa96edf142730f1d)"
	.section	".note.GNU-stack","",@progbits
	.addrsig
	.addrsig_sym __hip_cuid_e31385bc809c405
	.amdgpu_metadata
---
amdhsa.kernels:
  - .agpr_count:     0
    .args:
      - .actual_access:  read_only
        .address_space:  global
        .offset:         0
        .size:           8
        .value_kind:     global_buffer
      - .actual_access:  read_only
        .address_space:  global
        .offset:         8
        .size:           8
        .value_kind:     global_buffer
      - .actual_access:  read_only
        .address_space:  global
        .offset:         16
        .size:           8
        .value_kind:     global_buffer
      - .actual_access:  read_only
        .address_space:  global
        .offset:         24
        .size:           8
        .value_kind:     global_buffer
      - .actual_access:  read_only
        .address_space:  global
        .offset:         32
        .size:           8
        .value_kind:     global_buffer
      - .offset:         40
        .size:           8
        .value_kind:     by_value
      - .address_space:  global
        .offset:         48
        .size:           8
        .value_kind:     global_buffer
      - .address_space:  global
        .offset:         56
        .size:           8
        .value_kind:     global_buffer
      - .address_space:  global
        .offset:         64
        .size:           8
        .value_kind:     global_buffer
      - .address_space:  global
        .offset:         72
        .size:           8
        .value_kind:     global_buffer
      - .offset:         80
        .size:           4
        .value_kind:     by_value
      - .address_space:  global
        .offset:         88
        .size:           8
        .value_kind:     global_buffer
      - .address_space:  global
        .offset:         96
        .size:           8
        .value_kind:     global_buffer
    .group_segment_fixed_size: 21296
    .kernarg_segment_align: 8
    .kernarg_segment_size: 104
    .language:       OpenCL C
    .language_version:
      - 2
      - 0
    .max_flat_workgroup_size: 242
    .name:           bluestein_single_back_len1331_dim1_sp_op_CI_CI
    .private_segment_fixed_size: 0
    .sgpr_count:     50
    .sgpr_spill_count: 0
    .symbol:         bluestein_single_back_len1331_dim1_sp_op_CI_CI.kd
    .uniform_work_group_size: 1
    .uses_dynamic_stack: false
    .vgpr_count:     208
    .vgpr_spill_count: 0
    .wavefront_size: 64
amdhsa.target:   amdgcn-amd-amdhsa--gfx950
amdhsa.version:
  - 1
  - 2
...

	.end_amdgpu_metadata
